;; amdgpu-corpus repo=ROCm/rccl kind=compiled arch=gfx1250 opt=O3
	.amdgcn_target "amdgcn-amd-amdhsa--gfx1250"
	.amdhsa_code_object_version 6
	.text
	.p2align	2                               ; -- Begin function __ockl_fprintf_append_string_n
	.type	__ockl_fprintf_append_string_n,@function
__ockl_fprintf_append_string_n:         ; @__ockl_fprintf_append_string_n
; %bb.0:
	s_wait_loadcnt_dscnt 0x0
	s_wait_kmcnt 0x0
	v_or_b32_e32 v2, 2, v0
	v_cmp_eq_u32_e32 vcc_lo, 0, v6
	v_mbcnt_lo_u32_b32 v30, -1, 0
	s_get_pc_i64 s[0:1]
	s_add_nc_u64 s[0:1], s[0:1], .str.3@rel64+4
	s_mov_b32 s6, 0
	s_cmp_lg_u64 s[0:1], 0
	v_cndmask_b32_e32 v3, v2, v0, vcc_lo
	s_cbranch_scc0 .LBB0_113
; %bb.1:
	s_load_b64 s[2:3], s[8:9], 0x50
	s_delay_alu instid0(VALU_DEP_1) | instskip(SKIP_3) | instid1(VALU_DEP_4)
	v_dual_mov_b32 v7, 0 :: v_dual_bitop2_b32 v0, -3, v3 bitop3:0x40
	v_mov_b64_e32 v[8:9], 0x100000002
	v_mov_b64_e32 v[32:33], s[0:1]
	v_and_b32_e32 v2, 2, v3
	v_mov_b64_e32 v[10:11], v[0:1]
	s_mov_b32 s7, 0
	s_branch .LBB0_3
.LBB0_2:                                ;   in Loop: Header=BB0_3 Depth=1
	s_or_b32 exec_lo, exec_lo, s10
	v_sub_nc_u64_e32 v[4:5], v[4:5], v[34:35]
	v_add_nc_u64_e32 v[32:33], v[32:33], v[34:35]
	s_delay_alu instid0(VALU_DEP_2) | instskip(SKIP_1) | instid1(SALU_CYCLE_1)
	v_cmp_eq_u64_e32 vcc_lo, 0, v[4:5]
	s_or_b32 s7, vcc_lo, s7
	s_and_not1_b32 exec_lo, exec_lo, s7
	s_cbranch_execz .LBB0_85
.LBB0_3:                                ; =>This Loop Header: Depth=1
                                        ;     Child Loop BB0_6 Depth 2
                                        ;     Child Loop BB0_14 Depth 2
	;; [unrolled: 1-line block ×11, first 2 shown]
	v_min_u64 v[34:35], v[4:5], 56
	s_delay_alu instid0(VALU_DEP_3)
	v_add_nc_u64_e32 v[16:17], 8, v[32:33]
	s_mov_b32 s0, exec_lo
	v_cmpx_gt_u64_e32 8, v[4:5]
	s_xor_b32 s4, exec_lo, s0
	s_cbranch_execz .LBB0_9
; %bb.4:                                ;   in Loop: Header=BB0_3 Depth=1
	s_wait_loadcnt 0x0
	v_mov_b64_e32 v[12:13], 0
	s_mov_b32 s5, exec_lo
	v_cmpx_ne_u64_e32 0, v[4:5]
	s_cbranch_execz .LBB0_8
; %bb.5:                                ;   in Loop: Header=BB0_3 Depth=1
	v_mov_b64_e32 v[12:13], 0
	v_mov_b64_e32 v[14:15], v[32:33]
	v_lshlrev_b32_e32 v0, 3, v34
	s_mov_b64 s[0:1], 0
	s_mov_b32 s10, 0
.LBB0_6:                                ;   Parent Loop BB0_3 Depth=1
                                        ; =>  This Inner Loop Header: Depth=2
	global_load_u8 v6, v[14:15], off
	v_mov_b32_e32 v17, s6
	s_wait_xcnt 0x0
	v_add_nc_u64_e32 v[14:15], 1, v[14:15]
	s_wait_loadcnt 0x0
	v_and_b32_e32 v16, 0xffff, v6
	s_delay_alu instid0(VALU_DEP_1) | instskip(SKIP_1) | instid1(SALU_CYCLE_1)
	v_lshlrev_b64_e32 v[16:17], s0, v[16:17]
	s_add_nc_u64 s[0:1], s[0:1], 8
	v_cmp_eq_u32_e32 vcc_lo, s0, v0
	s_delay_alu instid0(VALU_DEP_2) | instskip(NEXT) | instid1(VALU_DEP_3)
	v_or_b32_e32 v13, v17, v13
	v_or_b32_e32 v12, v16, v12
	s_or_b32 s10, vcc_lo, s10
	s_delay_alu instid0(SALU_CYCLE_1)
	s_and_not1_b32 exec_lo, exec_lo, s10
	s_cbranch_execnz .LBB0_6
; %bb.7:                                ;   in Loop: Header=BB0_3 Depth=1
	s_or_b32 exec_lo, exec_lo, s10
.LBB0_8:                                ;   in Loop: Header=BB0_3 Depth=1
	s_delay_alu instid0(SALU_CYCLE_1)
	s_or_b32 exec_lo, exec_lo, s5
	v_mov_b64_e32 v[16:17], v[32:33]
.LBB0_9:                                ;   in Loop: Header=BB0_3 Depth=1
	s_or_saveexec_b32 s0, s4
	v_mov_b32_e32 v0, 0
	s_xor_b32 exec_lo, exec_lo, s0
	s_cbranch_execz .LBB0_11
; %bb.10:                               ;   in Loop: Header=BB0_3 Depth=1
	s_wait_loadcnt 0x0
	global_load_b64 v[12:13], v[32:33], off
	v_add_nc_u32_e32 v0, -8, v34
.LBB0_11:                               ;   in Loop: Header=BB0_3 Depth=1
	s_wait_xcnt 0x0
	s_or_b32 exec_lo, exec_lo, s0
	v_add_nc_u64_e32 v[18:19], 8, v[16:17]
                                        ; implicit-def: $vgpr14_vgpr15
	s_mov_b32 s0, exec_lo
	v_cmpx_gt_u32_e32 8, v0
	s_xor_b32 s10, exec_lo, s0
	s_cbranch_execz .LBB0_17
; %bb.12:                               ;   in Loop: Header=BB0_3 Depth=1
	v_mov_b64_e32 v[14:15], 0
	s_mov_b32 s11, exec_lo
	v_cmpx_ne_u32_e32 0, v0
	s_cbranch_execz .LBB0_16
; %bb.13:                               ;   in Loop: Header=BB0_3 Depth=1
	v_mov_b64_e32 v[14:15], 0
	s_mov_b64 s[0:1], 0
	s_mov_b32 s12, 0
	s_mov_b64 s[4:5], 0
.LBB0_14:                               ;   Parent Loop BB0_3 Depth=1
                                        ; =>  This Inner Loop Header: Depth=2
	s_delay_alu instid0(SALU_CYCLE_1) | instskip(SKIP_1) | instid1(SALU_CYCLE_1)
	v_add_nc_u64_e32 v[18:19], s[4:5], v[16:17]
	s_add_nc_u64 s[4:5], s[4:5], 1
	v_cmp_eq_u32_e32 vcc_lo, s4, v0
	global_load_u8 v6, v[18:19], off
	s_wait_xcnt 0x0
	v_mov_b32_e32 v19, s6
	s_or_b32 s12, vcc_lo, s12
	s_wait_loadcnt 0x0
	v_and_b32_e32 v18, 0xffff, v6
	s_delay_alu instid0(VALU_DEP_1) | instskip(SKIP_1) | instid1(VALU_DEP_1)
	v_lshlrev_b64_e32 v[18:19], s0, v[18:19]
	s_add_nc_u64 s[0:1], s[0:1], 8
	v_or_b32_e32 v15, v19, v15
	s_delay_alu instid0(VALU_DEP_2)
	v_or_b32_e32 v14, v18, v14
	s_and_not1_b32 exec_lo, exec_lo, s12
	s_cbranch_execnz .LBB0_14
; %bb.15:                               ;   in Loop: Header=BB0_3 Depth=1
	s_or_b32 exec_lo, exec_lo, s12
.LBB0_16:                               ;   in Loop: Header=BB0_3 Depth=1
	s_delay_alu instid0(SALU_CYCLE_1)
	s_or_b32 exec_lo, exec_lo, s11
	v_mov_b64_e32 v[18:19], v[16:17]
                                        ; implicit-def: $vgpr0
.LBB0_17:                               ;   in Loop: Header=BB0_3 Depth=1
	s_or_saveexec_b32 s0, s10
	v_mov_b32_e32 v6, 0
	s_xor_b32 exec_lo, exec_lo, s0
	s_cbranch_execz .LBB0_19
; %bb.18:                               ;   in Loop: Header=BB0_3 Depth=1
	global_load_b64 v[14:15], v[16:17], off
	v_add_nc_u32_e32 v6, -8, v0
.LBB0_19:                               ;   in Loop: Header=BB0_3 Depth=1
	s_wait_xcnt 0x0
	s_or_b32 exec_lo, exec_lo, s0
	v_add_nc_u64_e32 v[20:21], 8, v[18:19]
	s_mov_b32 s0, exec_lo
	v_cmpx_gt_u32_e32 8, v6
	s_xor_b32 s10, exec_lo, s0
	s_cbranch_execz .LBB0_25
; %bb.20:                               ;   in Loop: Header=BB0_3 Depth=1
	v_mov_b64_e32 v[16:17], 0
	s_mov_b32 s11, exec_lo
	v_cmpx_ne_u32_e32 0, v6
	s_cbranch_execz .LBB0_24
; %bb.21:                               ;   in Loop: Header=BB0_3 Depth=1
	v_mov_b64_e32 v[16:17], 0
	s_mov_b64 s[0:1], 0
	s_mov_b32 s12, 0
	s_mov_b64 s[4:5], 0
.LBB0_22:                               ;   Parent Loop BB0_3 Depth=1
                                        ; =>  This Inner Loop Header: Depth=2
	s_delay_alu instid0(SALU_CYCLE_1) | instskip(SKIP_1) | instid1(SALU_CYCLE_1)
	v_add_nc_u64_e32 v[20:21], s[4:5], v[18:19]
	s_add_nc_u64 s[4:5], s[4:5], 1
	v_cmp_eq_u32_e32 vcc_lo, s4, v6
	global_load_u8 v0, v[20:21], off
	s_wait_xcnt 0x0
	v_mov_b32_e32 v21, s6
	s_or_b32 s12, vcc_lo, s12
	s_wait_loadcnt 0x0
	v_and_b32_e32 v20, 0xffff, v0
	s_delay_alu instid0(VALU_DEP_1) | instskip(SKIP_1) | instid1(VALU_DEP_1)
	v_lshlrev_b64_e32 v[20:21], s0, v[20:21]
	s_add_nc_u64 s[0:1], s[0:1], 8
	v_or_b32_e32 v17, v21, v17
	s_delay_alu instid0(VALU_DEP_2)
	v_or_b32_e32 v16, v20, v16
	s_and_not1_b32 exec_lo, exec_lo, s12
	s_cbranch_execnz .LBB0_22
; %bb.23:                               ;   in Loop: Header=BB0_3 Depth=1
	s_or_b32 exec_lo, exec_lo, s12
.LBB0_24:                               ;   in Loop: Header=BB0_3 Depth=1
	s_delay_alu instid0(SALU_CYCLE_1)
	s_or_b32 exec_lo, exec_lo, s11
	v_mov_b64_e32 v[20:21], v[18:19]
                                        ; implicit-def: $vgpr6
.LBB0_25:                               ;   in Loop: Header=BB0_3 Depth=1
	s_or_saveexec_b32 s0, s10
	v_mov_b32_e32 v0, 0
	s_xor_b32 exec_lo, exec_lo, s0
	s_cbranch_execz .LBB0_27
; %bb.26:                               ;   in Loop: Header=BB0_3 Depth=1
	global_load_b64 v[16:17], v[18:19], off
	v_add_nc_u32_e32 v0, -8, v6
.LBB0_27:                               ;   in Loop: Header=BB0_3 Depth=1
	s_wait_xcnt 0x0
	s_or_b32 exec_lo, exec_lo, s0
	v_add_nc_u64_e32 v[22:23], 8, v[20:21]
                                        ; implicit-def: $vgpr18_vgpr19
	s_mov_b32 s0, exec_lo
	v_cmpx_gt_u32_e32 8, v0
	s_xor_b32 s10, exec_lo, s0
	s_cbranch_execz .LBB0_33
; %bb.28:                               ;   in Loop: Header=BB0_3 Depth=1
	v_mov_b64_e32 v[18:19], 0
	s_mov_b32 s11, exec_lo
	v_cmpx_ne_u32_e32 0, v0
	s_cbranch_execz .LBB0_32
; %bb.29:                               ;   in Loop: Header=BB0_3 Depth=1
	v_mov_b64_e32 v[18:19], 0
	s_mov_b64 s[0:1], 0
	s_mov_b32 s12, 0
	s_mov_b64 s[4:5], 0
.LBB0_30:                               ;   Parent Loop BB0_3 Depth=1
                                        ; =>  This Inner Loop Header: Depth=2
	s_delay_alu instid0(SALU_CYCLE_1) | instskip(SKIP_1) | instid1(SALU_CYCLE_1)
	v_add_nc_u64_e32 v[22:23], s[4:5], v[20:21]
	s_add_nc_u64 s[4:5], s[4:5], 1
	v_cmp_eq_u32_e32 vcc_lo, s4, v0
	global_load_u8 v6, v[22:23], off
	s_wait_xcnt 0x0
	v_mov_b32_e32 v23, s6
	s_or_b32 s12, vcc_lo, s12
	s_wait_loadcnt 0x0
	v_and_b32_e32 v22, 0xffff, v6
	s_delay_alu instid0(VALU_DEP_1) | instskip(SKIP_1) | instid1(VALU_DEP_1)
	v_lshlrev_b64_e32 v[22:23], s0, v[22:23]
	s_add_nc_u64 s[0:1], s[0:1], 8
	v_or_b32_e32 v19, v23, v19
	s_delay_alu instid0(VALU_DEP_2)
	v_or_b32_e32 v18, v22, v18
	s_and_not1_b32 exec_lo, exec_lo, s12
	s_cbranch_execnz .LBB0_30
; %bb.31:                               ;   in Loop: Header=BB0_3 Depth=1
	s_or_b32 exec_lo, exec_lo, s12
.LBB0_32:                               ;   in Loop: Header=BB0_3 Depth=1
	s_delay_alu instid0(SALU_CYCLE_1)
	s_or_b32 exec_lo, exec_lo, s11
	v_mov_b64_e32 v[22:23], v[20:21]
                                        ; implicit-def: $vgpr0
.LBB0_33:                               ;   in Loop: Header=BB0_3 Depth=1
	s_or_saveexec_b32 s0, s10
	v_mov_b32_e32 v6, 0
	s_xor_b32 exec_lo, exec_lo, s0
	s_cbranch_execz .LBB0_35
; %bb.34:                               ;   in Loop: Header=BB0_3 Depth=1
	global_load_b64 v[18:19], v[20:21], off
	v_add_nc_u32_e32 v6, -8, v0
.LBB0_35:                               ;   in Loop: Header=BB0_3 Depth=1
	s_wait_xcnt 0x0
	s_or_b32 exec_lo, exec_lo, s0
	v_add_nc_u64_e32 v[24:25], 8, v[22:23]
	s_mov_b32 s0, exec_lo
	v_cmpx_gt_u32_e32 8, v6
	s_xor_b32 s10, exec_lo, s0
	s_cbranch_execz .LBB0_41
; %bb.36:                               ;   in Loop: Header=BB0_3 Depth=1
	v_mov_b64_e32 v[20:21], 0
	s_mov_b32 s11, exec_lo
	v_cmpx_ne_u32_e32 0, v6
	s_cbranch_execz .LBB0_40
; %bb.37:                               ;   in Loop: Header=BB0_3 Depth=1
	v_mov_b64_e32 v[20:21], 0
	s_mov_b64 s[0:1], 0
	s_mov_b32 s12, 0
	s_mov_b64 s[4:5], 0
.LBB0_38:                               ;   Parent Loop BB0_3 Depth=1
                                        ; =>  This Inner Loop Header: Depth=2
	s_delay_alu instid0(SALU_CYCLE_1) | instskip(SKIP_1) | instid1(SALU_CYCLE_1)
	v_add_nc_u64_e32 v[24:25], s[4:5], v[22:23]
	s_add_nc_u64 s[4:5], s[4:5], 1
	v_cmp_eq_u32_e32 vcc_lo, s4, v6
	global_load_u8 v0, v[24:25], off
	s_wait_xcnt 0x0
	v_mov_b32_e32 v25, s6
	s_or_b32 s12, vcc_lo, s12
	s_wait_loadcnt 0x0
	v_and_b32_e32 v24, 0xffff, v0
	s_delay_alu instid0(VALU_DEP_1) | instskip(SKIP_1) | instid1(VALU_DEP_1)
	v_lshlrev_b64_e32 v[24:25], s0, v[24:25]
	s_add_nc_u64 s[0:1], s[0:1], 8
	v_or_b32_e32 v21, v25, v21
	s_delay_alu instid0(VALU_DEP_2)
	v_or_b32_e32 v20, v24, v20
	s_and_not1_b32 exec_lo, exec_lo, s12
	s_cbranch_execnz .LBB0_38
; %bb.39:                               ;   in Loop: Header=BB0_3 Depth=1
	s_or_b32 exec_lo, exec_lo, s12
.LBB0_40:                               ;   in Loop: Header=BB0_3 Depth=1
	s_delay_alu instid0(SALU_CYCLE_1)
	s_or_b32 exec_lo, exec_lo, s11
	v_mov_b64_e32 v[24:25], v[22:23]
                                        ; implicit-def: $vgpr6
.LBB0_41:                               ;   in Loop: Header=BB0_3 Depth=1
	s_or_saveexec_b32 s0, s10
	v_mov_b32_e32 v0, 0
	s_xor_b32 exec_lo, exec_lo, s0
	s_cbranch_execz .LBB0_43
; %bb.42:                               ;   in Loop: Header=BB0_3 Depth=1
	global_load_b64 v[20:21], v[22:23], off
	v_add_nc_u32_e32 v0, -8, v6
.LBB0_43:                               ;   in Loop: Header=BB0_3 Depth=1
	s_wait_xcnt 0x0
	s_or_b32 exec_lo, exec_lo, s0
	v_add_nc_u64_e32 v[26:27], 8, v[24:25]
                                        ; implicit-def: $vgpr22_vgpr23
	s_mov_b32 s0, exec_lo
	v_cmpx_gt_u32_e32 8, v0
	s_xor_b32 s10, exec_lo, s0
	s_cbranch_execz .LBB0_49
; %bb.44:                               ;   in Loop: Header=BB0_3 Depth=1
	v_mov_b64_e32 v[22:23], 0
	s_mov_b32 s11, exec_lo
	v_cmpx_ne_u32_e32 0, v0
	s_cbranch_execz .LBB0_48
; %bb.45:                               ;   in Loop: Header=BB0_3 Depth=1
	v_mov_b64_e32 v[22:23], 0
	s_mov_b64 s[0:1], 0
	s_mov_b32 s12, 0
	s_mov_b64 s[4:5], 0
.LBB0_46:                               ;   Parent Loop BB0_3 Depth=1
                                        ; =>  This Inner Loop Header: Depth=2
	s_delay_alu instid0(SALU_CYCLE_1) | instskip(SKIP_1) | instid1(SALU_CYCLE_1)
	v_add_nc_u64_e32 v[26:27], s[4:5], v[24:25]
	s_add_nc_u64 s[4:5], s[4:5], 1
	v_cmp_eq_u32_e32 vcc_lo, s4, v0
	global_load_u8 v6, v[26:27], off
	s_wait_xcnt 0x0
	v_mov_b32_e32 v27, s6
	s_or_b32 s12, vcc_lo, s12
	s_wait_loadcnt 0x0
	v_and_b32_e32 v26, 0xffff, v6
	s_delay_alu instid0(VALU_DEP_1) | instskip(SKIP_1) | instid1(VALU_DEP_1)
	v_lshlrev_b64_e32 v[26:27], s0, v[26:27]
	s_add_nc_u64 s[0:1], s[0:1], 8
	v_or_b32_e32 v23, v27, v23
	s_delay_alu instid0(VALU_DEP_2)
	v_or_b32_e32 v22, v26, v22
	s_and_not1_b32 exec_lo, exec_lo, s12
	s_cbranch_execnz .LBB0_46
; %bb.47:                               ;   in Loop: Header=BB0_3 Depth=1
	s_or_b32 exec_lo, exec_lo, s12
.LBB0_48:                               ;   in Loop: Header=BB0_3 Depth=1
	s_delay_alu instid0(SALU_CYCLE_1)
	s_or_b32 exec_lo, exec_lo, s11
	v_mov_b64_e32 v[26:27], v[24:25]
                                        ; implicit-def: $vgpr0
.LBB0_49:                               ;   in Loop: Header=BB0_3 Depth=1
	s_or_saveexec_b32 s0, s10
	v_mov_b32_e32 v6, 0
	s_xor_b32 exec_lo, exec_lo, s0
	s_cbranch_execz .LBB0_51
; %bb.50:                               ;   in Loop: Header=BB0_3 Depth=1
	global_load_b64 v[22:23], v[24:25], off
	v_add_nc_u32_e32 v6, -8, v0
.LBB0_51:                               ;   in Loop: Header=BB0_3 Depth=1
	s_wait_xcnt 0x0
	s_or_b32 exec_lo, exec_lo, s0
	s_delay_alu instid0(SALU_CYCLE_1) | instskip(NEXT) | instid1(VALU_DEP_1)
	s_mov_b32 s0, exec_lo
	v_cmpx_gt_u32_e32 8, v6
	s_xor_b32 s4, exec_lo, s0
	s_cbranch_execz .LBB0_57
; %bb.52:                               ;   in Loop: Header=BB0_3 Depth=1
	v_mov_b64_e32 v[24:25], 0
	s_mov_b32 s5, exec_lo
	v_cmpx_ne_u32_e32 0, v6
	s_cbranch_execz .LBB0_56
; %bb.53:                               ;   in Loop: Header=BB0_3 Depth=1
	v_mov_b64_e32 v[24:25], 0
	s_mov_b64 s[0:1], 0
	s_mov_b32 s10, 0
.LBB0_54:                               ;   Parent Loop BB0_3 Depth=1
                                        ; =>  This Inner Loop Header: Depth=2
	global_load_u8 v0, v[26:27], off
	v_dual_mov_b32 v29, s6 :: v_dual_add_nc_u32 v6, -1, v6
	s_wait_xcnt 0x0
	v_add_nc_u64_e32 v[26:27], 1, v[26:27]
	s_delay_alu instid0(VALU_DEP_2) | instskip(SKIP_3) | instid1(VALU_DEP_1)
	v_cmp_eq_u32_e32 vcc_lo, 0, v6
	s_or_b32 s10, vcc_lo, s10
	s_wait_loadcnt 0x0
	v_and_b32_e32 v28, 0xffff, v0
	v_lshlrev_b64_e32 v[28:29], s0, v[28:29]
	s_add_nc_u64 s[0:1], s[0:1], 8
	s_delay_alu instid0(VALU_DEP_1) | instskip(NEXT) | instid1(VALU_DEP_2)
	v_or_b32_e32 v25, v29, v25
	v_or_b32_e32 v24, v28, v24
	s_and_not1_b32 exec_lo, exec_lo, s10
	s_cbranch_execnz .LBB0_54
; %bb.55:                               ;   in Loop: Header=BB0_3 Depth=1
	s_or_b32 exec_lo, exec_lo, s10
.LBB0_56:                               ;   in Loop: Header=BB0_3 Depth=1
	s_delay_alu instid0(SALU_CYCLE_1)
	s_or_b32 exec_lo, exec_lo, s5
                                        ; implicit-def: $vgpr26_vgpr27
.LBB0_57:                               ;   in Loop: Header=BB0_3 Depth=1
	s_and_not1_saveexec_b32 s0, s4
	s_cbranch_execz .LBB0_59
; %bb.58:                               ;   in Loop: Header=BB0_3 Depth=1
	global_load_b64 v[24:25], v[26:27], off
.LBB0_59:                               ;   in Loop: Header=BB0_3 Depth=1
	s_wait_xcnt 0x0
	s_or_b32 exec_lo, exec_lo, s0
	v_readfirstlane_b32 s0, v30
	v_mov_b64_e32 v[36:37], 0
	s_delay_alu instid0(VALU_DEP_2)
	v_cmp_eq_u32_e64 s0, s0, v30
	s_and_saveexec_b32 s1, s0
	s_cbranch_execz .LBB0_65
; %bb.60:                               ;   in Loop: Header=BB0_3 Depth=1
	s_wait_kmcnt 0x0
	global_load_b64 v[28:29], v7, s[2:3] offset:24 scope:SCOPE_SYS
	s_wait_loadcnt 0x0
	global_inv scope:SCOPE_SYS
	s_clause 0x1
	global_load_b64 v[26:27], v7, s[2:3] offset:40
	global_load_b64 v[36:37], v7, s[2:3]
	s_mov_b32 s4, exec_lo
	s_wait_loadcnt 0x1
	v_and_b32_e32 v26, v26, v28
	v_and_b32_e32 v27, v27, v29
	s_delay_alu instid0(VALU_DEP_1) | instskip(SKIP_1) | instid1(VALU_DEP_1)
	v_mul_u64_e32 v[26:27], 24, v[26:27]
	s_wait_loadcnt 0x0
	v_add_nc_u64_e32 v[26:27], v[36:37], v[26:27]
	global_load_b64 v[26:27], v[26:27], off scope:SCOPE_SYS
	s_wait_xcnt 0x0
	s_wait_loadcnt 0x0
	global_atomic_cmpswap_b64 v[36:37], v7, v[26:29], s[2:3] offset:24 th:TH_ATOMIC_RETURN scope:SCOPE_SYS
	s_wait_loadcnt 0x0
	global_inv scope:SCOPE_SYS
	s_wait_xcnt 0x0
	v_cmpx_ne_u64_e64 v[36:37], v[28:29]
	s_cbranch_execz .LBB0_64
; %bb.61:                               ;   in Loop: Header=BB0_3 Depth=1
	s_mov_b32 s5, 0
.LBB0_62:                               ;   Parent Loop BB0_3 Depth=1
                                        ; =>  This Inner Loop Header: Depth=2
	s_sleep 1
	s_clause 0x1
	global_load_b64 v[26:27], v7, s[2:3] offset:40
	global_load_b64 v[38:39], v7, s[2:3]
	v_mov_b64_e32 v[28:29], v[36:37]
	s_wait_loadcnt 0x1
	s_delay_alu instid0(VALU_DEP_1) | instskip(SKIP_1) | instid1(VALU_DEP_1)
	v_and_b32_e32 v0, v26, v28
	s_wait_loadcnt 0x0
	v_mad_nc_u64_u32 v[36:37], v0, 24, v[38:39]
	s_delay_alu instid0(VALU_DEP_3) | instskip(NEXT) | instid1(VALU_DEP_1)
	v_and_b32_e32 v0, v27, v29
	v_mad_u32 v37, v0, 24, v37
	global_load_b64 v[26:27], v[36:37], off scope:SCOPE_SYS
	s_wait_xcnt 0x0
	s_wait_loadcnt 0x0
	global_atomic_cmpswap_b64 v[36:37], v7, v[26:29], s[2:3] offset:24 th:TH_ATOMIC_RETURN scope:SCOPE_SYS
	s_wait_loadcnt 0x0
	global_inv scope:SCOPE_SYS
	v_cmp_eq_u64_e32 vcc_lo, v[36:37], v[28:29]
	s_or_b32 s5, vcc_lo, s5
	s_wait_xcnt 0x0
	s_and_not1_b32 exec_lo, exec_lo, s5
	s_cbranch_execnz .LBB0_62
; %bb.63:                               ;   in Loop: Header=BB0_3 Depth=1
	s_or_b32 exec_lo, exec_lo, s5
.LBB0_64:                               ;   in Loop: Header=BB0_3 Depth=1
	s_delay_alu instid0(SALU_CYCLE_1)
	s_or_b32 exec_lo, exec_lo, s4
.LBB0_65:                               ;   in Loop: Header=BB0_3 Depth=1
	s_delay_alu instid0(SALU_CYCLE_1)
	s_or_b32 exec_lo, exec_lo, s1
	s_wait_kmcnt 0x0
	s_clause 0x1
	global_load_b64 v[38:39], v7, s[2:3] offset:40
	global_load_b128 v[26:29], v7, s[2:3]
	v_readfirstlane_b32 s4, v36
	v_readfirstlane_b32 s5, v37
	s_mov_b32 s1, exec_lo
	s_wait_loadcnt 0x1
	v_and_b32_e32 v38, s4, v38
	v_and_b32_e32 v39, s5, v39
	s_delay_alu instid0(VALU_DEP_1) | instskip(SKIP_1) | instid1(VALU_DEP_1)
	v_mul_u64_e32 v[36:37], 24, v[38:39]
	s_wait_loadcnt 0x0
	v_add_nc_u64_e32 v[36:37], v[26:27], v[36:37]
	s_wait_xcnt 0x0
	s_and_saveexec_b32 s10, s0
	s_cbranch_execz .LBB0_67
; %bb.66:                               ;   in Loop: Header=BB0_3 Depth=1
	v_mov_b32_e32 v6, s1
	global_store_b128 v[36:37], v[6:9], off offset:8
.LBB0_67:                               ;   in Loop: Header=BB0_3 Depth=1
	s_wait_xcnt 0x0
	s_or_b32 exec_lo, exec_lo, s10
	v_cmp_gt_u64_e32 vcc_lo, 57, v[4:5]
	v_lshlrev_b64_e32 v[38:39], 12, v[38:39]
	v_and_b32_e32 v6, 0xffffff1f, v10
	v_lshl_add_u32 v10, v34, 2, 28
	v_cndmask_b32_e32 v0, 0, v2, vcc_lo
	s_delay_alu instid0(VALU_DEP_4) | instskip(NEXT) | instid1(VALU_DEP_2)
	v_add_nc_u64_e32 v[28:29], v[28:29], v[38:39]
	v_dual_lshlrev_b32 v6, 6, v30 :: v_dual_bitop2_b32 v0, v6, v0 bitop3:0x54
	s_delay_alu instid0(VALU_DEP_2) | instskip(NEXT) | instid1(VALU_DEP_3)
	v_readfirstlane_b32 s10, v28
	v_readfirstlane_b32 s11, v29
	s_delay_alu instid0(VALU_DEP_3)
	v_and_or_b32 v10, 0x1e0, v10, v0
	s_clause 0x3
	global_store_b128 v6, v[10:13], s[10:11]
	global_store_b128 v6, v[14:17], s[10:11] offset:16
	global_store_b128 v6, v[18:21], s[10:11] offset:32
	;; [unrolled: 1-line block ×3, first 2 shown]
	s_wait_xcnt 0x0
	s_and_saveexec_b32 s1, s0
	s_cbranch_execz .LBB0_75
; %bb.68:                               ;   in Loop: Header=BB0_3 Depth=1
	s_clause 0x1
	global_load_b64 v[18:19], v7, s[2:3] offset:32 scope:SCOPE_SYS
	global_load_b64 v[10:11], v7, s[2:3] offset:40
	s_mov_b32 s10, exec_lo
	v_dual_mov_b32 v16, s4 :: v_dual_mov_b32 v17, s5
	s_wait_loadcnt 0x0
	v_and_b32_e32 v11, s5, v11
	v_and_b32_e32 v10, s4, v10
	s_delay_alu instid0(VALU_DEP_1) | instskip(NEXT) | instid1(VALU_DEP_1)
	v_mul_u64_e32 v[10:11], 24, v[10:11]
	v_add_nc_u64_e32 v[14:15], v[26:27], v[10:11]
	global_store_b64 v[14:15], v[18:19], off
	global_wb scope:SCOPE_SYS
	s_wait_storecnt 0x0
	s_wait_xcnt 0x0
	global_atomic_cmpswap_b64 v[12:13], v7, v[16:19], s[2:3] offset:32 th:TH_ATOMIC_RETURN scope:SCOPE_SYS
	s_wait_loadcnt 0x0
	v_cmpx_ne_u64_e64 v[12:13], v[18:19]
	s_cbranch_execz .LBB0_71
; %bb.69:                               ;   in Loop: Header=BB0_3 Depth=1
	s_mov_b32 s11, 0
.LBB0_70:                               ;   Parent Loop BB0_3 Depth=1
                                        ; =>  This Inner Loop Header: Depth=2
	v_dual_mov_b32 v10, s4 :: v_dual_mov_b32 v11, s5
	s_sleep 1
	global_store_b64 v[14:15], v[12:13], off
	global_wb scope:SCOPE_SYS
	s_wait_storecnt 0x0
	s_wait_xcnt 0x0
	global_atomic_cmpswap_b64 v[10:11], v7, v[10:13], s[2:3] offset:32 th:TH_ATOMIC_RETURN scope:SCOPE_SYS
	s_wait_loadcnt 0x0
	v_cmp_eq_u64_e32 vcc_lo, v[10:11], v[12:13]
	v_mov_b64_e32 v[12:13], v[10:11]
	s_or_b32 s11, vcc_lo, s11
	s_delay_alu instid0(SALU_CYCLE_1)
	s_and_not1_b32 exec_lo, exec_lo, s11
	s_cbranch_execnz .LBB0_70
.LBB0_71:                               ;   in Loop: Header=BB0_3 Depth=1
	s_or_b32 exec_lo, exec_lo, s10
	global_load_b64 v[10:11], v7, s[2:3] offset:16
	s_mov_b32 s11, exec_lo
	s_mov_b32 s10, exec_lo
	v_mbcnt_lo_u32_b32 v0, s11, 0
	s_wait_xcnt 0x0
	s_delay_alu instid0(VALU_DEP_1)
	v_cmpx_eq_u32_e32 0, v0
	s_cbranch_execz .LBB0_73
; %bb.72:                               ;   in Loop: Header=BB0_3 Depth=1
	s_bcnt1_i32_b32 s11, s11
	s_delay_alu instid0(SALU_CYCLE_1)
	v_dual_mov_b32 v13, v7 :: v_dual_mov_b32 v12, s11
	global_wb scope:SCOPE_SYS
	s_wait_loadcnt 0x0
	s_wait_storecnt 0x0
	global_atomic_add_u64 v[10:11], v[12:13], off offset:8 scope:SCOPE_SYS
.LBB0_73:                               ;   in Loop: Header=BB0_3 Depth=1
	s_wait_xcnt 0x0
	s_or_b32 exec_lo, exec_lo, s10
	s_wait_loadcnt 0x0
	global_load_b64 v[12:13], v[10:11], off offset:16
	s_wait_loadcnt 0x0
	v_cmp_eq_u64_e32 vcc_lo, 0, v[12:13]
	s_cbranch_vccnz .LBB0_75
; %bb.74:                               ;   in Loop: Header=BB0_3 Depth=1
	global_load_b32 v10, v[10:11], off offset:24
	s_wait_xcnt 0x0
	v_mov_b32_e32 v11, v7
	s_wait_loadcnt 0x0
	v_readfirstlane_b32 s10, v10
	global_wb scope:SCOPE_SYS
	s_wait_storecnt 0x0
	global_store_b64 v[12:13], v[10:11], off scope:SCOPE_SYS
	s_and_b32 m0, s10, 0xffffff
	s_sendmsg sendmsg(MSG_INTERRUPT)
.LBB0_75:                               ;   in Loop: Header=BB0_3 Depth=1
	s_wait_xcnt 0x0
	s_or_b32 exec_lo, exec_lo, s1
	v_add_nc_u64_e32 v[10:11], v[28:29], v[6:7]
	s_branch .LBB0_79
.LBB0_76:                               ;   in Loop: Header=BB0_79 Depth=2
	s_wait_xcnt 0x0
	s_or_b32 exec_lo, exec_lo, s1
	s_delay_alu instid0(VALU_DEP_1)
	v_readfirstlane_b32 s1, v0
	s_cmp_eq_u32 s1, 0
	s_cbranch_scc1 .LBB0_78
; %bb.77:                               ;   in Loop: Header=BB0_79 Depth=2
	s_sleep 1
	s_cbranch_execnz .LBB0_79
	s_branch .LBB0_81
.LBB0_78:                               ;   in Loop: Header=BB0_3 Depth=1
	s_branch .LBB0_81
.LBB0_79:                               ;   Parent Loop BB0_3 Depth=1
                                        ; =>  This Inner Loop Header: Depth=2
	v_mov_b32_e32 v0, 1
	s_and_saveexec_b32 s1, s0
	s_cbranch_execz .LBB0_76
; %bb.80:                               ;   in Loop: Header=BB0_79 Depth=2
	global_load_b32 v0, v[36:37], off offset:20 scope:SCOPE_SYS
	s_wait_loadcnt 0x0
	global_inv scope:SCOPE_SYS
	v_and_b32_e32 v0, 1, v0
	s_branch .LBB0_76
.LBB0_81:                               ;   in Loop: Header=BB0_3 Depth=1
	global_load_b128 v[10:13], v[10:11], off
	s_wait_xcnt 0x0
	s_and_saveexec_b32 s10, s0
	s_cbranch_execz .LBB0_2
; %bb.82:                               ;   in Loop: Header=BB0_3 Depth=1
	s_wait_loadcnt 0x0
	s_clause 0x2
	global_load_b64 v[12:13], v7, s[2:3] offset:40
	global_load_b64 v[20:21], v7, s[2:3] offset:24 scope:SCOPE_SYS
	global_load_b64 v[14:15], v7, s[2:3]
	s_wait_loadcnt 0x2
	v_readfirstlane_b32 s12, v12
	v_readfirstlane_b32 s13, v13
	s_add_nc_u64 s[0:1], s[12:13], 1
	s_delay_alu instid0(SALU_CYCLE_1) | instskip(NEXT) | instid1(SALU_CYCLE_1)
	s_add_nc_u64 s[4:5], s[0:1], s[4:5]
	s_cmp_eq_u64 s[4:5], 0
	s_cselect_b32 s1, s1, s5
	s_cselect_b32 s0, s0, s4
	s_delay_alu instid0(SALU_CYCLE_1) | instskip(SKIP_1) | instid1(SALU_CYCLE_1)
	v_dual_mov_b32 v19, s1 :: v_dual_mov_b32 v18, s0
	s_and_b64 s[4:5], s[0:1], s[12:13]
	s_mul_u64 s[4:5], s[4:5], 24
	s_wait_loadcnt 0x0
	v_add_nc_u64_e32 v[16:17], s[4:5], v[14:15]
	global_store_b64 v[16:17], v[20:21], off
	global_wb scope:SCOPE_SYS
	s_wait_storecnt 0x0
	s_wait_xcnt 0x0
	global_atomic_cmpswap_b64 v[14:15], v7, v[18:21], s[2:3] offset:24 th:TH_ATOMIC_RETURN scope:SCOPE_SYS
	s_wait_loadcnt 0x0
	v_cmp_ne_u64_e32 vcc_lo, v[14:15], v[20:21]
	s_and_b32 exec_lo, exec_lo, vcc_lo
	s_cbranch_execz .LBB0_2
; %bb.83:                               ;   in Loop: Header=BB0_3 Depth=1
	s_mov_b32 s4, 0
.LBB0_84:                               ;   Parent Loop BB0_3 Depth=1
                                        ; =>  This Inner Loop Header: Depth=2
	v_dual_mov_b32 v12, s0 :: v_dual_mov_b32 v13, s1
	s_sleep 1
	global_store_b64 v[16:17], v[14:15], off
	global_wb scope:SCOPE_SYS
	s_wait_storecnt 0x0
	s_wait_xcnt 0x0
	global_atomic_cmpswap_b64 v[12:13], v7, v[12:15], s[2:3] offset:24 th:TH_ATOMIC_RETURN scope:SCOPE_SYS
	s_wait_loadcnt 0x0
	v_cmp_eq_u64_e32 vcc_lo, v[12:13], v[14:15]
	v_mov_b64_e32 v[14:15], v[12:13]
	s_or_b32 s4, vcc_lo, s4
	s_delay_alu instid0(SALU_CYCLE_1)
	s_and_not1_b32 exec_lo, exec_lo, s4
	s_cbranch_execnz .LBB0_84
	s_branch .LBB0_2
.LBB0_85:
	s_or_b32 exec_lo, exec_lo, s7
	s_branch .LBB0_114
.LBB0_86:
	s_load_b64 s[2:3], s[8:9], 0x50
	v_readfirstlane_b32 s0, v30
	v_mov_b64_e32 v[8:9], 0
	s_delay_alu instid0(VALU_DEP_2)
	v_cmp_eq_u32_e64 s0, s0, v30
	s_and_saveexec_b32 s1, s0
	s_cbranch_execz .LBB0_92
; %bb.87:
	v_mov_b32_e32 v0, 0
	s_mov_b32 s4, exec_lo
	s_wait_kmcnt 0x0
	global_load_b64 v[6:7], v0, s[2:3] offset:24 scope:SCOPE_SYS
	s_wait_loadcnt 0x0
	global_inv scope:SCOPE_SYS
	s_clause 0x1
	global_load_b64 v[4:5], v0, s[2:3] offset:40
	global_load_b64 v[8:9], v0, s[2:3]
	s_wait_loadcnt 0x1
	v_and_b32_e32 v4, v4, v6
	v_and_b32_e32 v5, v5, v7
	s_delay_alu instid0(VALU_DEP_1) | instskip(SKIP_1) | instid1(VALU_DEP_1)
	v_mul_u64_e32 v[4:5], 24, v[4:5]
	s_wait_loadcnt 0x0
	v_add_nc_u64_e32 v[4:5], v[8:9], v[4:5]
	global_load_b64 v[4:5], v[4:5], off scope:SCOPE_SYS
	s_wait_xcnt 0x0
	s_wait_loadcnt 0x0
	global_atomic_cmpswap_b64 v[8:9], v0, v[4:7], s[2:3] offset:24 th:TH_ATOMIC_RETURN scope:SCOPE_SYS
	s_wait_loadcnt 0x0
	global_inv scope:SCOPE_SYS
	s_wait_xcnt 0x0
	v_cmpx_ne_u64_e64 v[8:9], v[6:7]
	s_cbranch_execz .LBB0_91
; %bb.88:
	s_mov_b32 s5, 0
.LBB0_89:                               ; =>This Inner Loop Header: Depth=1
	s_sleep 1
	s_clause 0x1
	global_load_b64 v[4:5], v0, s[2:3] offset:40
	global_load_b64 v[10:11], v0, s[2:3]
	v_mov_b64_e32 v[6:7], v[8:9]
	s_wait_loadcnt 0x1
	s_delay_alu instid0(VALU_DEP_1) | instskip(SKIP_1) | instid1(VALU_DEP_1)
	v_and_b32_e32 v2, v4, v6
	s_wait_loadcnt 0x0
	v_mad_nc_u64_u32 v[8:9], v2, 24, v[10:11]
	s_delay_alu instid0(VALU_DEP_3) | instskip(NEXT) | instid1(VALU_DEP_1)
	v_and_b32_e32 v2, v5, v7
	v_mad_u32 v9, v2, 24, v9
	global_load_b64 v[4:5], v[8:9], off scope:SCOPE_SYS
	s_wait_xcnt 0x0
	s_wait_loadcnt 0x0
	global_atomic_cmpswap_b64 v[8:9], v0, v[4:7], s[2:3] offset:24 th:TH_ATOMIC_RETURN scope:SCOPE_SYS
	s_wait_loadcnt 0x0
	global_inv scope:SCOPE_SYS
	v_cmp_eq_u64_e32 vcc_lo, v[8:9], v[6:7]
	s_or_b32 s5, vcc_lo, s5
	s_wait_xcnt 0x0
	s_and_not1_b32 exec_lo, exec_lo, s5
	s_cbranch_execnz .LBB0_89
; %bb.90:
	s_or_b32 exec_lo, exec_lo, s5
.LBB0_91:
	s_delay_alu instid0(SALU_CYCLE_1)
	s_or_b32 exec_lo, exec_lo, s4
.LBB0_92:
	s_delay_alu instid0(SALU_CYCLE_1)
	s_or_b32 exec_lo, exec_lo, s1
	v_readfirstlane_b32 s4, v8
	v_mov_b32_e32 v2, 0
	v_readfirstlane_b32 s5, v9
	s_mov_b32 s1, exec_lo
	s_wait_loadcnt 0x0
	s_wait_kmcnt 0x0
	s_clause 0x1
	global_load_b64 v[10:11], v2, s[2:3] offset:40
	global_load_b128 v[4:7], v2, s[2:3]
	s_wait_loadcnt 0x1
	v_and_b32_e32 v10, s4, v10
	v_and_b32_e32 v11, s5, v11
	s_delay_alu instid0(VALU_DEP_1) | instskip(SKIP_1) | instid1(VALU_DEP_1)
	v_mul_u64_e32 v[8:9], 24, v[10:11]
	s_wait_loadcnt 0x0
	v_add_nc_u64_e32 v[8:9], v[4:5], v[8:9]
	s_wait_xcnt 0x0
	s_and_saveexec_b32 s6, s0
	s_cbranch_execz .LBB0_94
; %bb.93:
	v_mov_b64_e32 v[14:15], 0x100000002
	v_dual_mov_b32 v12, s1 :: v_dual_mov_b32 v13, v2
	global_store_b128 v[8:9], v[12:15], off offset:8
.LBB0_94:
	s_wait_xcnt 0x0
	s_or_b32 exec_lo, exec_lo, s6
	v_lshlrev_b64_e32 v[10:11], 12, v[10:11]
	s_mov_b32 s8, 0
	v_and_or_b32 v0, 0xffffff1f, v3, 32
	s_mov_b32 s10, s8
	s_mov_b32 s11, s8
	;; [unrolled: 1-line block ×3, first 2 shown]
	v_dual_mov_b32 v3, v2 :: v_dual_lshlrev_b32 v14, 6, v30
	v_add_nc_u64_e32 v[6:7], v[6:7], v[10:11]
	v_mov_b64_e32 v[12:13], s[10:11]
	v_mov_b64_e32 v[10:11], s[8:9]
	s_delay_alu instid0(VALU_DEP_3) | instskip(NEXT) | instid1(VALU_DEP_4)
	v_readfirstlane_b32 s6, v6
	v_readfirstlane_b32 s7, v7
	s_clause 0x3
	global_store_b128 v14, v[0:3], s[6:7]
	global_store_b128 v14, v[10:13], s[6:7] offset:16
	global_store_b128 v14, v[10:13], s[6:7] offset:32
	;; [unrolled: 1-line block ×3, first 2 shown]
	s_wait_xcnt 0x0
	s_and_saveexec_b32 s1, s0
	s_cbranch_execz .LBB0_102
; %bb.95:
	v_dual_mov_b32 v6, 0 :: v_dual_mov_b32 v11, s5
	s_mov_b32 s6, exec_lo
	s_clause 0x1
	global_load_b64 v[12:13], v6, s[2:3] offset:32 scope:SCOPE_SYS
	global_load_b64 v[0:1], v6, s[2:3] offset:40
	s_wait_loadcnt 0x0
	v_dual_mov_b32 v10, s4 :: v_dual_bitop2_b32 v1, s5, v1 bitop3:0x40
	v_and_b32_e32 v0, s4, v0
	s_delay_alu instid0(VALU_DEP_1) | instskip(NEXT) | instid1(VALU_DEP_1)
	v_mul_u64_e32 v[0:1], 24, v[0:1]
	v_add_nc_u64_e32 v[4:5], v[4:5], v[0:1]
	global_store_b64 v[4:5], v[12:13], off
	global_wb scope:SCOPE_SYS
	s_wait_storecnt 0x0
	s_wait_xcnt 0x0
	global_atomic_cmpswap_b64 v[2:3], v6, v[10:13], s[2:3] offset:32 th:TH_ATOMIC_RETURN scope:SCOPE_SYS
	s_wait_loadcnt 0x0
	v_cmpx_ne_u64_e64 v[2:3], v[12:13]
	s_cbranch_execz .LBB0_98
; %bb.96:
	s_mov_b32 s7, 0
.LBB0_97:                               ; =>This Inner Loop Header: Depth=1
	v_dual_mov_b32 v0, s4 :: v_dual_mov_b32 v1, s5
	s_sleep 1
	global_store_b64 v[4:5], v[2:3], off
	global_wb scope:SCOPE_SYS
	s_wait_storecnt 0x0
	s_wait_xcnt 0x0
	global_atomic_cmpswap_b64 v[0:1], v6, v[0:3], s[2:3] offset:32 th:TH_ATOMIC_RETURN scope:SCOPE_SYS
	s_wait_loadcnt 0x0
	v_cmp_eq_u64_e32 vcc_lo, v[0:1], v[2:3]
	v_mov_b64_e32 v[2:3], v[0:1]
	s_or_b32 s7, vcc_lo, s7
	s_delay_alu instid0(SALU_CYCLE_1)
	s_and_not1_b32 exec_lo, exec_lo, s7
	s_cbranch_execnz .LBB0_97
.LBB0_98:
	s_or_b32 exec_lo, exec_lo, s6
	v_mov_b32_e32 v3, 0
	s_mov_b32 s7, exec_lo
	s_mov_b32 s6, exec_lo
	v_mbcnt_lo_u32_b32 v2, s7, 0
	global_load_b64 v[0:1], v3, s[2:3] offset:16
	s_wait_xcnt 0x0
	v_cmpx_eq_u32_e32 0, v2
	s_cbranch_execz .LBB0_100
; %bb.99:
	s_bcnt1_i32_b32 s7, s7
	s_delay_alu instid0(SALU_CYCLE_1)
	v_mov_b32_e32 v2, s7
	global_wb scope:SCOPE_SYS
	s_wait_loadcnt 0x0
	s_wait_storecnt 0x0
	global_atomic_add_u64 v[0:1], v[2:3], off offset:8 scope:SCOPE_SYS
.LBB0_100:
	s_wait_xcnt 0x0
	s_or_b32 exec_lo, exec_lo, s6
	s_wait_loadcnt 0x0
	global_load_b64 v[2:3], v[0:1], off offset:16
	s_wait_loadcnt 0x0
	v_cmp_eq_u64_e32 vcc_lo, 0, v[2:3]
	s_cbranch_vccnz .LBB0_102
; %bb.101:
	global_load_b32 v0, v[0:1], off offset:24
	s_wait_xcnt 0x0
	v_mov_b32_e32 v1, 0
	s_wait_loadcnt 0x0
	v_readfirstlane_b32 s6, v0
	global_wb scope:SCOPE_SYS
	s_wait_storecnt 0x0
	global_store_b64 v[2:3], v[0:1], off scope:SCOPE_SYS
	s_and_b32 m0, s6, 0xffffff
	s_sendmsg sendmsg(MSG_INTERRUPT)
.LBB0_102:
	s_wait_xcnt 0x0
	s_or_b32 exec_lo, exec_lo, s1
	s_branch .LBB0_106
.LBB0_103:                              ;   in Loop: Header=BB0_106 Depth=1
	s_wait_xcnt 0x0
	s_or_b32 exec_lo, exec_lo, s1
	s_delay_alu instid0(VALU_DEP_1)
	v_readfirstlane_b32 s1, v0
	s_cmp_eq_u32 s1, 0
	s_cbranch_scc1 .LBB0_105
; %bb.104:                              ;   in Loop: Header=BB0_106 Depth=1
	s_sleep 1
	s_cbranch_execnz .LBB0_106
	s_branch .LBB0_108
.LBB0_105:
	s_branch .LBB0_108
.LBB0_106:                              ; =>This Inner Loop Header: Depth=1
	v_mov_b32_e32 v0, 1
	s_and_saveexec_b32 s1, s0
	s_cbranch_execz .LBB0_103
; %bb.107:                              ;   in Loop: Header=BB0_106 Depth=1
	global_load_b32 v0, v[8:9], off offset:20 scope:SCOPE_SYS
	s_wait_loadcnt 0x0
	global_inv scope:SCOPE_SYS
	v_and_b32_e32 v0, 1, v0
	s_branch .LBB0_103
.LBB0_108:
	s_and_saveexec_b32 s6, s0
	s_cbranch_execz .LBB0_112
; %bb.109:
	v_mov_b32_e32 v6, 0
	s_clause 0x2
	global_load_b64 v[0:1], v6, s[2:3] offset:40
	global_load_b64 v[10:11], v6, s[2:3] offset:24 scope:SCOPE_SYS
	global_load_b64 v[2:3], v6, s[2:3]
	s_wait_loadcnt 0x2
	v_readfirstlane_b32 s8, v0
	v_readfirstlane_b32 s9, v1
	s_add_nc_u64 s[0:1], s[8:9], 1
	s_delay_alu instid0(SALU_CYCLE_1) | instskip(NEXT) | instid1(SALU_CYCLE_1)
	s_add_nc_u64 s[4:5], s[0:1], s[4:5]
	s_cmp_eq_u64 s[4:5], 0
	s_cselect_b32 s1, s1, s5
	s_cselect_b32 s0, s0, s4
	v_mov_b32_e32 v9, s1
	s_and_b64 s[4:5], s[0:1], s[8:9]
	v_mov_b32_e32 v8, s0
	s_mul_u64 s[4:5], s[4:5], 24
	s_wait_loadcnt 0x0
	v_add_nc_u64_e32 v[4:5], s[4:5], v[2:3]
	global_store_b64 v[4:5], v[10:11], off
	global_wb scope:SCOPE_SYS
	s_wait_storecnt 0x0
	s_wait_xcnt 0x0
	global_atomic_cmpswap_b64 v[2:3], v6, v[8:11], s[2:3] offset:24 th:TH_ATOMIC_RETURN scope:SCOPE_SYS
	s_wait_loadcnt 0x0
	v_cmp_ne_u64_e32 vcc_lo, v[2:3], v[10:11]
	s_and_b32 exec_lo, exec_lo, vcc_lo
	s_cbranch_execz .LBB0_112
; %bb.110:
	s_mov_b32 s4, 0
.LBB0_111:                              ; =>This Inner Loop Header: Depth=1
	v_dual_mov_b32 v0, s0 :: v_dual_mov_b32 v1, s1
	s_sleep 1
	global_store_b64 v[4:5], v[2:3], off
	global_wb scope:SCOPE_SYS
	s_wait_storecnt 0x0
	s_wait_xcnt 0x0
	global_atomic_cmpswap_b64 v[0:1], v6, v[0:3], s[2:3] offset:24 th:TH_ATOMIC_RETURN scope:SCOPE_SYS
	s_wait_loadcnt 0x0
	v_cmp_eq_u64_e32 vcc_lo, v[0:1], v[2:3]
	v_mov_b64_e32 v[2:3], v[0:1]
	s_or_b32 s4, vcc_lo, s4
	s_delay_alu instid0(SALU_CYCLE_1)
	s_and_not1_b32 exec_lo, exec_lo, s4
	s_cbranch_execnz .LBB0_111
.LBB0_112:
	s_or_b32 exec_lo, exec_lo, s6
	s_wait_loadcnt 0x0
	s_wait_kmcnt 0x0
	s_set_pc_i64 s[30:31]
.LBB0_113:
	s_cbranch_execnz .LBB0_86
.LBB0_114:
	s_wait_loadcnt 0x0
	s_wait_kmcnt 0x0
	s_set_pc_i64 s[30:31]
.Lfunc_end0:
	.size	__ockl_fprintf_append_string_n, .Lfunc_end0-__ockl_fprintf_append_string_n
                                        ; -- End function
	.set .L__ockl_fprintf_append_string_n.num_vgpr, 40
	.set .L__ockl_fprintf_append_string_n.num_agpr, 0
	.set .L__ockl_fprintf_append_string_n.numbered_sgpr, 32
	.set .L__ockl_fprintf_append_string_n.num_named_barrier, 0
	.set .L__ockl_fprintf_append_string_n.private_seg_size, 0
	.set .L__ockl_fprintf_append_string_n.uses_vcc, 1
	.set .L__ockl_fprintf_append_string_n.uses_flat_scratch, 0
	.set .L__ockl_fprintf_append_string_n.has_dyn_sized_stack, 0
	.set .L__ockl_fprintf_append_string_n.has_recursion, 0
	.set .L__ockl_fprintf_append_string_n.has_indirect_call, 0
	.section	.AMDGPU.csdata,"",@progbits
; Function info:
; codeLenInByte = 4324
; TotalNumSgprs: 34
; NumVgprs: 40
; ScratchSize: 0
; MemoryBound: 0
	.text
	.p2align	2                               ; -- Begin function __assert_fail
	.type	__assert_fail,@function
__assert_fail:                          ; @__assert_fail
; %bb.0:
	s_wait_loadcnt_dscnt 0x0
	s_wait_kmcnt 0x0
	s_mov_b32 s20, s33
	s_mov_b32 s33, s32
	s_or_saveexec_b32 s0, -1
	scratch_store_b32 off, v40, s33 offset:48 ; 4-byte Folded Spill
	s_wait_xcnt 0x0
	s_mov_b32 exec_lo, s0
	v_writelane_b32 v40, s30, 0
	s_add_co_i32 s32, s32, 64
	v_writelane_b32 v40, s31, 1
	v_mov_b32_e32 v8, 0
	s_get_pc_i64 s[0:1]
	s_add_nc_u64 s[0:1], s[0:1], __const.__assert_fail.fmt@rel64+35
	v_dual_mov_b32 v5, v1 :: v_dual_mov_b32 v4, v0
	s_get_pc_i64 s[10:11]
	s_add_nc_u64 s[10:11], s[10:11], __const.__assert_fail.fmt@rel64+20
	global_load_b128 v[0:3], v8, s[0:1]
	s_wait_xcnt 0x0
	s_get_pc_i64 s[0:1]
	s_add_nc_u64 s[0:1], s[0:1], __const.__assert_fail.fmt@rel64+4
	s_clause 0x1
	s_load_b128 s[4:7], s[0:1], 0x0
	s_load_b128 s[12:15], s[10:11], 0x0
	s_load_b64 s[2:3], s[8:9], 0x50
	v_mbcnt_lo_u32_b32 v48, -1, 0
	v_mov_b64_e32 v[6:7], 0
	s_wait_xcnt 0x0
	s_delay_alu instid0(VALU_DEP_2) | instskip(NEXT) | instid1(VALU_DEP_1)
	v_readfirstlane_b32 s0, v48
	v_cmp_eq_u32_e64 s0, s0, v48
	s_wait_kmcnt 0x0
	v_mov_b64_e32 v[12:13], s[6:7]
	v_mov_b64_e32 v[10:11], s[4:5]
	;; [unrolled: 1-line block ×4, first 2 shown]
	s_clause 0x1
	scratch_store_b128 off, v[10:13], s33
	scratch_store_b128 off, v[14:17], s33 offset:16
	s_wait_loadcnt 0x0
	scratch_store_b128 off, v[0:3], s33 offset:31
	s_wait_xcnt 0x0
	s_and_saveexec_b32 s1, s0
	s_cbranch_execz .LBB1_6
; %bb.1:
	global_load_b64 v[2:3], v8, s[2:3] offset:24 scope:SCOPE_SYS
	s_wait_loadcnt 0x0
	global_inv scope:SCOPE_SYS
	s_clause 0x1
	global_load_b64 v[0:1], v8, s[2:3] offset:40
	global_load_b64 v[6:7], v8, s[2:3]
	s_mov_b32 s4, exec_lo
	s_wait_loadcnt 0x1
	v_and_b32_e32 v0, v0, v2
	v_and_b32_e32 v1, v1, v3
	s_delay_alu instid0(VALU_DEP_1) | instskip(SKIP_1) | instid1(VALU_DEP_1)
	v_mul_u64_e32 v[0:1], 24, v[0:1]
	s_wait_loadcnt 0x0
	v_add_nc_u64_e32 v[0:1], v[6:7], v[0:1]
	global_load_b64 v[0:1], v[0:1], off scope:SCOPE_SYS
	s_wait_xcnt 0x0
	s_wait_loadcnt 0x0
	global_atomic_cmpswap_b64 v[6:7], v8, v[0:3], s[2:3] offset:24 th:TH_ATOMIC_RETURN scope:SCOPE_SYS
	s_wait_loadcnt 0x0
	global_inv scope:SCOPE_SYS
	s_wait_xcnt 0x0
	v_cmpx_ne_u64_e64 v[6:7], v[2:3]
	s_cbranch_execz .LBB1_5
; %bb.2:
	v_mov_b32_e32 v0, 0
	s_mov_b32 s5, 0
.LBB1_3:                                ; =>This Inner Loop Header: Depth=1
	s_sleep 1
	s_clause 0x1
	global_load_b64 v[2:3], v0, s[2:3] offset:40
	global_load_b64 v[10:11], v0, s[2:3]
	v_mov_b64_e32 v[12:13], v[6:7]
	s_wait_loadcnt 0x1
	s_delay_alu instid0(VALU_DEP_1) | instskip(SKIP_1) | instid1(VALU_DEP_1)
	v_and_b32_e32 v1, v2, v12
	s_wait_loadcnt 0x0
	v_mad_nc_u64_u32 v[6:7], v1, 24, v[10:11]
	s_delay_alu instid0(VALU_DEP_3) | instskip(NEXT) | instid1(VALU_DEP_1)
	v_and_b32_e32 v1, v3, v13
	v_mad_u32 v7, v1, 24, v7
	global_load_b64 v[10:11], v[6:7], off scope:SCOPE_SYS
	s_wait_xcnt 0x0
	s_wait_loadcnt 0x0
	global_atomic_cmpswap_b64 v[6:7], v0, v[10:13], s[2:3] offset:24 th:TH_ATOMIC_RETURN scope:SCOPE_SYS
	s_wait_loadcnt 0x0
	global_inv scope:SCOPE_SYS
	v_cmp_eq_u64_e32 vcc_lo, v[6:7], v[12:13]
	s_or_b32 s5, vcc_lo, s5
	s_wait_xcnt 0x0
	s_and_not1_b32 exec_lo, exec_lo, s5
	s_cbranch_execnz .LBB1_3
; %bb.4:
	s_or_b32 exec_lo, exec_lo, s5
.LBB1_5:
	s_delay_alu instid0(SALU_CYCLE_1)
	s_or_b32 exec_lo, exec_lo, s4
.LBB1_6:
	s_delay_alu instid0(SALU_CYCLE_1)
	s_or_b32 exec_lo, exec_lo, s1
	s_clause 0x1
	global_load_b64 v[10:11], v8, s[2:3] offset:40
	global_load_b128 v[0:3], v8, s[2:3]
	v_readfirstlane_b32 s4, v6
	v_readfirstlane_b32 s5, v7
	s_mov_b32 s1, exec_lo
	s_wait_loadcnt 0x1
	s_wait_xcnt 0x0
	v_and_b32_e32 v8, s4, v10
	v_and_b32_e32 v9, s5, v11
	s_delay_alu instid0(VALU_DEP_1) | instskip(SKIP_1) | instid1(VALU_DEP_1)
	v_mul_u64_e32 v[6:7], 24, v[8:9]
	s_wait_loadcnt 0x0
	v_add_nc_u64_e32 v[6:7], v[0:1], v[6:7]
	s_and_saveexec_b32 s6, s0
	s_cbranch_execz .LBB1_8
; %bb.7:
	v_mov_b64_e32 v[12:13], 0x100000002
	v_dual_mov_b32 v10, s1 :: v_dual_mov_b32 v11, 0
	global_store_b128 v[6:7], v[10:13], off offset:8
.LBB1_8:
	s_wait_xcnt 0x0
	s_or_b32 exec_lo, exec_lo, s6
	v_lshlrev_b64_e32 v[8:9], 12, v[8:9]
	s_mov_b32 s12, 0
	v_dual_mov_b32 v31, 0 :: v_dual_lshlrev_b32 v30, 6, v48
	s_mov_b32 s14, s12
	s_mov_b32 s15, s12
	;; [unrolled: 1-line block ×3, first 2 shown]
	s_delay_alu instid0(VALU_DEP_2)
	v_add_nc_u64_e32 v[8:9], v[2:3], v[8:9]
	v_mov_b64_e32 v[16:17], s[14:15]
	v_mov_b64_e32 v[14:15], s[12:13]
	v_dual_mov_b32 v10, 33 :: v_dual_mov_b32 v12, 1
	v_dual_mov_b32 v11, v31 :: v_dual_mov_b32 v13, v31
	v_readfirstlane_b32 s6, v8
	v_readfirstlane_b32 s7, v9
	s_clause 0x3
	global_store_b128 v30, v[10:13], s[6:7]
	global_store_b128 v30, v[14:17], s[6:7] offset:16
	global_store_b128 v30, v[14:17], s[6:7] offset:32
	;; [unrolled: 1-line block ×3, first 2 shown]
	s_wait_xcnt 0x0
	s_and_saveexec_b32 s1, s0
	s_cbranch_execz .LBB1_16
; %bb.9:
	s_clause 0x1
	global_load_b64 v[14:15], v31, s[2:3] offset:32 scope:SCOPE_SYS
	global_load_b64 v[2:3], v31, s[2:3] offset:40
	s_mov_b32 s6, exec_lo
	v_dual_mov_b32 v12, s4 :: v_dual_mov_b32 v13, s5
	s_wait_loadcnt 0x0
	v_and_b32_e32 v3, s5, v3
	v_and_b32_e32 v2, s4, v2
	s_delay_alu instid0(VALU_DEP_1) | instskip(NEXT) | instid1(VALU_DEP_1)
	v_mul_u64_e32 v[2:3], 24, v[2:3]
	v_add_nc_u64_e32 v[10:11], v[0:1], v[2:3]
	global_store_b64 v[10:11], v[14:15], off
	global_wb scope:SCOPE_SYS
	s_wait_storecnt 0x0
	s_wait_xcnt 0x0
	global_atomic_cmpswap_b64 v[2:3], v31, v[12:15], s[2:3] offset:32 th:TH_ATOMIC_RETURN scope:SCOPE_SYS
	s_wait_loadcnt 0x0
	v_cmpx_ne_u64_e64 v[2:3], v[14:15]
	s_cbranch_execz .LBB1_12
; %bb.10:
	v_mov_b32_e32 v12, 0
	s_mov_b32 s7, 0
.LBB1_11:                               ; =>This Inner Loop Header: Depth=1
	v_dual_mov_b32 v0, s4 :: v_dual_mov_b32 v1, s5
	s_sleep 1
	global_store_b64 v[10:11], v[2:3], off
	global_wb scope:SCOPE_SYS
	s_wait_storecnt 0x0
	s_wait_xcnt 0x0
	global_atomic_cmpswap_b64 v[0:1], v12, v[0:3], s[2:3] offset:32 th:TH_ATOMIC_RETURN scope:SCOPE_SYS
	s_wait_loadcnt 0x0
	v_cmp_eq_u64_e32 vcc_lo, v[0:1], v[2:3]
	v_mov_b64_e32 v[2:3], v[0:1]
	s_or_b32 s7, vcc_lo, s7
	s_delay_alu instid0(SALU_CYCLE_1)
	s_and_not1_b32 exec_lo, exec_lo, s7
	s_cbranch_execnz .LBB1_11
.LBB1_12:
	s_or_b32 exec_lo, exec_lo, s6
	v_mov_b32_e32 v3, 0
	s_mov_b32 s7, exec_lo
	s_mov_b32 s6, exec_lo
	v_mbcnt_lo_u32_b32 v2, s7, 0
	global_load_b64 v[0:1], v3, s[2:3] offset:16
	s_wait_xcnt 0x0
	v_cmpx_eq_u32_e32 0, v2
	s_cbranch_execz .LBB1_14
; %bb.13:
	s_bcnt1_i32_b32 s7, s7
	s_delay_alu instid0(SALU_CYCLE_1)
	v_mov_b32_e32 v2, s7
	global_wb scope:SCOPE_SYS
	s_wait_loadcnt 0x0
	s_wait_storecnt 0x0
	global_atomic_add_u64 v[0:1], v[2:3], off offset:8 scope:SCOPE_SYS
.LBB1_14:
	s_wait_xcnt 0x0
	s_or_b32 exec_lo, exec_lo, s6
	s_wait_loadcnt 0x0
	global_load_b64 v[2:3], v[0:1], off offset:16
	s_wait_loadcnt 0x0
	v_cmp_eq_u64_e32 vcc_lo, 0, v[2:3]
	s_cbranch_vccnz .LBB1_16
; %bb.15:
	global_load_b32 v0, v[0:1], off offset:24
	s_wait_xcnt 0x0
	v_mov_b32_e32 v1, 0
	s_wait_loadcnt 0x0
	v_readfirstlane_b32 s6, v0
	global_wb scope:SCOPE_SYS
	s_wait_storecnt 0x0
	global_store_b64 v[2:3], v[0:1], off scope:SCOPE_SYS
	s_and_b32 m0, s6, 0xffffff
	s_sendmsg sendmsg(MSG_INTERRUPT)
.LBB1_16:
	s_wait_xcnt 0x0
	s_or_b32 exec_lo, exec_lo, s1
	v_add_nc_u64_e32 v[0:1], v[8:9], v[30:31]
	s_branch .LBB1_20
.LBB1_17:                               ;   in Loop: Header=BB1_20 Depth=1
	s_wait_xcnt 0x0
	s_or_b32 exec_lo, exec_lo, s1
	s_delay_alu instid0(VALU_DEP_1)
	v_readfirstlane_b32 s1, v2
	s_cmp_eq_u32 s1, 0
	s_cbranch_scc1 .LBB1_19
; %bb.18:                               ;   in Loop: Header=BB1_20 Depth=1
	s_sleep 1
	s_cbranch_execnz .LBB1_20
	s_branch .LBB1_22
.LBB1_19:
	s_branch .LBB1_22
.LBB1_20:                               ; =>This Inner Loop Header: Depth=1
	v_mov_b32_e32 v2, 1
	s_and_saveexec_b32 s1, s0
	s_cbranch_execz .LBB1_17
; %bb.21:                               ;   in Loop: Header=BB1_20 Depth=1
	global_load_b32 v2, v[6:7], off offset:20 scope:SCOPE_SYS
	s_wait_loadcnt 0x0
	global_inv scope:SCOPE_SYS
	v_and_b32_e32 v2, 1, v2
	s_branch .LBB1_17
.LBB1_22:
	global_load_b64 v[6:7], v[0:1], off
	s_wait_xcnt 0x0
	s_and_saveexec_b32 s6, s0
	s_cbranch_execz .LBB1_26
; %bb.23:
	v_mov_b32_e32 v10, 0
	s_clause 0x2
	global_load_b64 v[0:1], v10, s[2:3] offset:40
	global_load_b64 v[14:15], v10, s[2:3] offset:24 scope:SCOPE_SYS
	global_load_b64 v[2:3], v10, s[2:3]
	s_wait_loadcnt 0x2
	v_readfirstlane_b32 s10, v0
	v_readfirstlane_b32 s11, v1
	s_add_nc_u64 s[0:1], s[10:11], 1
	s_delay_alu instid0(SALU_CYCLE_1) | instskip(NEXT) | instid1(SALU_CYCLE_1)
	s_add_nc_u64 s[4:5], s[0:1], s[4:5]
	s_cmp_eq_u64 s[4:5], 0
	s_cselect_b32 s1, s1, s5
	s_cselect_b32 s0, s0, s4
	v_mov_b32_e32 v13, s1
	s_and_b64 s[4:5], s[0:1], s[10:11]
	v_mov_b32_e32 v12, s0
	s_mul_u64 s[4:5], s[4:5], 24
	s_wait_loadcnt 0x0
	v_add_nc_u64_e32 v[8:9], s[4:5], v[2:3]
	global_store_b64 v[8:9], v[14:15], off
	global_wb scope:SCOPE_SYS
	s_wait_storecnt 0x0
	s_wait_xcnt 0x0
	global_atomic_cmpswap_b64 v[2:3], v10, v[12:15], s[2:3] offset:24 th:TH_ATOMIC_RETURN scope:SCOPE_SYS
	s_wait_loadcnt 0x0
	v_cmp_ne_u64_e32 vcc_lo, v[2:3], v[14:15]
	s_and_b32 exec_lo, exec_lo, vcc_lo
	s_cbranch_execz .LBB1_26
; %bb.24:
	s_mov_b32 s4, 0
.LBB1_25:                               ; =>This Inner Loop Header: Depth=1
	v_dual_mov_b32 v0, s0 :: v_dual_mov_b32 v1, s1
	s_sleep 1
	global_store_b64 v[8:9], v[2:3], off
	global_wb scope:SCOPE_SYS
	s_wait_storecnt 0x0
	s_wait_xcnt 0x0
	global_atomic_cmpswap_b64 v[0:1], v10, v[0:3], s[2:3] offset:24 th:TH_ATOMIC_RETURN scope:SCOPE_SYS
	s_wait_loadcnt 0x0
	v_cmp_eq_u64_e32 vcc_lo, v[0:1], v[2:3]
	v_mov_b64_e32 v[2:3], v[0:1]
	s_or_b32 s4, vcc_lo, s4
	s_delay_alu instid0(SALU_CYCLE_1)
	s_and_not1_b32 exec_lo, exec_lo, s4
	s_cbranch_execnz .LBB1_25
.LBB1_26:
	s_or_b32 exec_lo, exec_lo, s6
	s_mov_b32 s1, s33
	s_mov_b32 s0, 0
.LBB1_27:                               ; =>This Inner Loop Header: Depth=1
	scratch_load_u8 v0, off, s1
	s_wait_xcnt 0x0
	s_add_co_i32 s1, s1, 1
	s_wait_loadcnt 0x0
	v_cmp_eq_u16_e32 vcc_lo, 0, v0
	v_mov_b32_e32 v0, s1
	s_or_b32 s0, vcc_lo, s0
	s_delay_alu instid0(SALU_CYCLE_1)
	s_and_not1_b32 exec_lo, exec_lo, s0
	s_cbranch_execnz .LBB1_27
; %bb.28:
	s_or_b32 exec_lo, exec_lo, s0
	s_cmp_lg_u32 s33, -1
	s_cbranch_scc0 .LBB1_113
; %bb.29:
	s_mov_b64 s[0:1], src_flat_scratch_base_lo
	v_mov_b64_e32 v[10:11], 0x100000002
	v_dual_add_nc_u32 v0, s0, v0 :: v_dual_bitop2_b32 v28, 2, v6 bitop3:0x40
	s_add_co_i32 s0, s33, s0
	v_dual_mov_b32 v31, 0 :: v_dual_mov_b32 v29, s33
	s_delay_alu instid0(VALU_DEP_2) | instskip(SKIP_3) | instid1(VALU_DEP_2)
	v_subrev_nc_u32_e32 v32, s0, v0
	v_dual_mov_b32 v1, v7 :: v_dual_bitop2_b32 v0, -3, v6 bitop3:0x40
	s_mov_b32 s7, 0
	s_mov_b32 s6, 0
	v_ashrrev_i32_e32 v33, 31, v32
	s_branch .LBB1_31
.LBB1_30:                               ;   in Loop: Header=BB1_31 Depth=1
	s_or_b32 exec_lo, exec_lo, s10
	v_sub_nc_u64_e32 v[32:33], v[32:33], v[34:35]
	v_add_nc_u32_e32 v29, v29, v34
	s_delay_alu instid0(VALU_DEP_2) | instskip(SKIP_1) | instid1(SALU_CYCLE_1)
	v_cmp_eq_u64_e32 vcc_lo, 0, v[32:33]
	s_or_b32 s6, vcc_lo, s6
	s_and_not1_b32 exec_lo, exec_lo, s6
	s_cbranch_execz .LBB1_192
.LBB1_31:                               ; =>This Loop Header: Depth=1
                                        ;     Child Loop BB1_34 Depth 2
                                        ;     Child Loop BB1_42 Depth 2
	;; [unrolled: 1-line block ×11, first 2 shown]
	s_delay_alu instid0(VALU_DEP_1)
	v_min_u64 v[34:35], v[32:33], 56
	v_add_nc_u32_e32 v9, 8, v29
	s_mov_b32 s0, exec_lo
	v_cmpx_gt_u64_e32 8, v[32:33]
	s_xor_b32 s4, exec_lo, s0
	s_cbranch_execz .LBB1_37
; %bb.32:                               ;   in Loop: Header=BB1_31 Depth=1
	v_mov_b64_e32 v[2:3], 0
	s_mov_b32 s5, exec_lo
	v_cmpx_ne_u64_e32 0, v[32:33]
	s_cbranch_execz .LBB1_36
; %bb.33:                               ;   in Loop: Header=BB1_31 Depth=1
	v_mov_b64_e32 v[2:3], 0
	v_dual_mov_b32 v9, v29 :: v_dual_lshlrev_b32 v8, 3, v34
	s_mov_b64 s[0:1], 0
	s_mov_b32 s10, 0
.LBB1_34:                               ;   Parent Loop BB1_31 Depth=1
                                        ; =>  This Inner Loop Header: Depth=2
	scratch_load_u8 v12, v9, off
	s_wait_xcnt 0x0
	v_dual_mov_b32 v13, s7 :: v_dual_add_nc_u32 v9, 1, v9
	s_wait_loadcnt 0x0
	v_and_b32_e32 v12, 0xffff, v12
	s_delay_alu instid0(VALU_DEP_1) | instskip(SKIP_1) | instid1(SALU_CYCLE_1)
	v_lshlrev_b64_e32 v[12:13], s0, v[12:13]
	s_add_nc_u64 s[0:1], s[0:1], 8
	v_cmp_eq_u32_e32 vcc_lo, s0, v8
	s_delay_alu instid0(VALU_DEP_2) | instskip(NEXT) | instid1(VALU_DEP_3)
	v_or_b32_e32 v3, v13, v3
	v_or_b32_e32 v2, v12, v2
	s_or_b32 s10, vcc_lo, s10
	s_delay_alu instid0(SALU_CYCLE_1)
	s_and_not1_b32 exec_lo, exec_lo, s10
	s_cbranch_execnz .LBB1_34
; %bb.35:                               ;   in Loop: Header=BB1_31 Depth=1
	s_or_b32 exec_lo, exec_lo, s10
.LBB1_36:                               ;   in Loop: Header=BB1_31 Depth=1
	s_delay_alu instid0(SALU_CYCLE_1)
	s_or_b32 exec_lo, exec_lo, s5
	v_mov_b32_e32 v9, v29
.LBB1_37:                               ;   in Loop: Header=BB1_31 Depth=1
	s_or_saveexec_b32 s0, s4
	v_mov_b32_e32 v14, 0
	s_xor_b32 exec_lo, exec_lo, s0
	s_cbranch_execz .LBB1_39
; %bb.38:                               ;   in Loop: Header=BB1_31 Depth=1
	scratch_load_b64 v[2:3], v29, off
	v_add_nc_u32_e32 v14, -8, v34
.LBB1_39:                               ;   in Loop: Header=BB1_31 Depth=1
	s_wait_xcnt 0x0
	s_or_b32 exec_lo, exec_lo, s0
	v_add_nc_u32_e32 v8, 8, v9
                                        ; implicit-def: $vgpr12_vgpr13
	s_mov_b32 s0, exec_lo
	v_cmpx_gt_u32_e32 8, v14
	s_xor_b32 s4, exec_lo, s0
	s_cbranch_execz .LBB1_45
; %bb.40:                               ;   in Loop: Header=BB1_31 Depth=1
	v_mov_b64_e32 v[12:13], 0
	s_mov_b32 s5, exec_lo
	v_cmpx_ne_u32_e32 0, v14
	s_cbranch_execz .LBB1_44
; %bb.41:                               ;   in Loop: Header=BB1_31 Depth=1
	v_mov_b64_e32 v[12:13], 0
	s_mov_b64 s[0:1], 0
	s_mov_b32 s10, 0
	s_mov_b32 s11, 0
.LBB1_42:                               ;   Parent Loop BB1_31 Depth=1
                                        ; =>  This Inner Loop Header: Depth=2
	scratch_load_u8 v8, v9, s11
	v_mov_b32_e32 v17, s7
	s_wait_xcnt 0x0
	s_add_co_i32 s11, s11, 1
	s_delay_alu instid0(SALU_CYCLE_1) | instskip(SKIP_3) | instid1(VALU_DEP_1)
	v_cmp_eq_u32_e32 vcc_lo, s11, v14
	s_or_b32 s10, vcc_lo, s10
	s_wait_loadcnt 0x0
	v_and_b32_e32 v16, 0xffff, v8
	v_lshlrev_b64_e32 v[16:17], s0, v[16:17]
	s_add_nc_u64 s[0:1], s[0:1], 8
	s_delay_alu instid0(VALU_DEP_1) | instskip(NEXT) | instid1(VALU_DEP_2)
	v_or_b32_e32 v13, v17, v13
	v_or_b32_e32 v12, v16, v12
	s_and_not1_b32 exec_lo, exec_lo, s10
	s_cbranch_execnz .LBB1_42
; %bb.43:                               ;   in Loop: Header=BB1_31 Depth=1
	s_or_b32 exec_lo, exec_lo, s10
.LBB1_44:                               ;   in Loop: Header=BB1_31 Depth=1
	s_delay_alu instid0(SALU_CYCLE_1)
	s_or_b32 exec_lo, exec_lo, s5
	v_mov_b32_e32 v8, v9
                                        ; implicit-def: $vgpr14
.LBB1_45:                               ;   in Loop: Header=BB1_31 Depth=1
	s_or_saveexec_b32 s0, s4
	v_mov_b32_e32 v16, 0
	s_xor_b32 exec_lo, exec_lo, s0
	s_cbranch_execz .LBB1_47
; %bb.46:                               ;   in Loop: Header=BB1_31 Depth=1
	scratch_load_b64 v[12:13], v9, off
	v_add_nc_u32_e32 v16, -8, v14
.LBB1_47:                               ;   in Loop: Header=BB1_31 Depth=1
	s_wait_xcnt 0x0
	s_or_b32 exec_lo, exec_lo, s0
	v_add_nc_u32_e32 v9, 8, v8
	s_mov_b32 s0, exec_lo
	v_cmpx_gt_u32_e32 8, v16
	s_xor_b32 s4, exec_lo, s0
	s_cbranch_execz .LBB1_53
; %bb.48:                               ;   in Loop: Header=BB1_31 Depth=1
	v_mov_b64_e32 v[14:15], 0
	s_mov_b32 s5, exec_lo
	v_cmpx_ne_u32_e32 0, v16
	s_cbranch_execz .LBB1_52
; %bb.49:                               ;   in Loop: Header=BB1_31 Depth=1
	v_mov_b64_e32 v[14:15], 0
	s_mov_b64 s[0:1], 0
	s_mov_b32 s10, 0
	s_mov_b32 s11, 0
.LBB1_50:                               ;   Parent Loop BB1_31 Depth=1
                                        ; =>  This Inner Loop Header: Depth=2
	scratch_load_u8 v9, v8, s11
	v_mov_b32_e32 v19, s7
	s_wait_xcnt 0x0
	s_add_co_i32 s11, s11, 1
	s_delay_alu instid0(SALU_CYCLE_1) | instskip(SKIP_3) | instid1(VALU_DEP_1)
	v_cmp_eq_u32_e32 vcc_lo, s11, v16
	s_or_b32 s10, vcc_lo, s10
	s_wait_loadcnt 0x0
	v_and_b32_e32 v18, 0xffff, v9
	v_lshlrev_b64_e32 v[18:19], s0, v[18:19]
	s_add_nc_u64 s[0:1], s[0:1], 8
	s_delay_alu instid0(VALU_DEP_1) | instskip(NEXT) | instid1(VALU_DEP_2)
	v_or_b32_e32 v15, v19, v15
	v_or_b32_e32 v14, v18, v14
	s_and_not1_b32 exec_lo, exec_lo, s10
	s_cbranch_execnz .LBB1_50
; %bb.51:                               ;   in Loop: Header=BB1_31 Depth=1
	s_or_b32 exec_lo, exec_lo, s10
.LBB1_52:                               ;   in Loop: Header=BB1_31 Depth=1
	s_delay_alu instid0(SALU_CYCLE_1)
	s_or_b32 exec_lo, exec_lo, s5
	v_mov_b32_e32 v9, v8
                                        ; implicit-def: $vgpr16
.LBB1_53:                               ;   in Loop: Header=BB1_31 Depth=1
	s_or_saveexec_b32 s0, s4
	v_mov_b32_e32 v18, 0
	s_xor_b32 exec_lo, exec_lo, s0
	s_cbranch_execz .LBB1_55
; %bb.54:                               ;   in Loop: Header=BB1_31 Depth=1
	scratch_load_b64 v[14:15], v8, off
	v_add_nc_u32_e32 v18, -8, v16
.LBB1_55:                               ;   in Loop: Header=BB1_31 Depth=1
	s_wait_xcnt 0x0
	s_or_b32 exec_lo, exec_lo, s0
	v_add_nc_u32_e32 v8, 8, v9
                                        ; implicit-def: $vgpr16_vgpr17
	s_mov_b32 s0, exec_lo
	v_cmpx_gt_u32_e32 8, v18
	s_xor_b32 s4, exec_lo, s0
	s_cbranch_execz .LBB1_61
; %bb.56:                               ;   in Loop: Header=BB1_31 Depth=1
	v_mov_b64_e32 v[16:17], 0
	s_mov_b32 s5, exec_lo
	v_cmpx_ne_u32_e32 0, v18
	s_cbranch_execz .LBB1_60
; %bb.57:                               ;   in Loop: Header=BB1_31 Depth=1
	v_mov_b64_e32 v[16:17], 0
	s_mov_b64 s[0:1], 0
	s_mov_b32 s10, 0
	s_mov_b32 s11, 0
.LBB1_58:                               ;   Parent Loop BB1_31 Depth=1
                                        ; =>  This Inner Loop Header: Depth=2
	scratch_load_u8 v8, v9, s11
	v_mov_b32_e32 v21, s7
	s_wait_xcnt 0x0
	s_add_co_i32 s11, s11, 1
	s_delay_alu instid0(SALU_CYCLE_1) | instskip(SKIP_3) | instid1(VALU_DEP_1)
	v_cmp_eq_u32_e32 vcc_lo, s11, v18
	s_or_b32 s10, vcc_lo, s10
	s_wait_loadcnt 0x0
	v_and_b32_e32 v20, 0xffff, v8
	v_lshlrev_b64_e32 v[20:21], s0, v[20:21]
	s_add_nc_u64 s[0:1], s[0:1], 8
	s_delay_alu instid0(VALU_DEP_1) | instskip(NEXT) | instid1(VALU_DEP_2)
	v_or_b32_e32 v17, v21, v17
	v_or_b32_e32 v16, v20, v16
	s_and_not1_b32 exec_lo, exec_lo, s10
	s_cbranch_execnz .LBB1_58
; %bb.59:                               ;   in Loop: Header=BB1_31 Depth=1
	s_or_b32 exec_lo, exec_lo, s10
.LBB1_60:                               ;   in Loop: Header=BB1_31 Depth=1
	s_delay_alu instid0(SALU_CYCLE_1)
	s_or_b32 exec_lo, exec_lo, s5
	v_mov_b32_e32 v8, v9
                                        ; implicit-def: $vgpr18
.LBB1_61:                               ;   in Loop: Header=BB1_31 Depth=1
	s_or_saveexec_b32 s0, s4
	v_mov_b32_e32 v20, 0
	s_xor_b32 exec_lo, exec_lo, s0
	s_cbranch_execz .LBB1_63
; %bb.62:                               ;   in Loop: Header=BB1_31 Depth=1
	scratch_load_b64 v[16:17], v9, off
	v_add_nc_u32_e32 v20, -8, v18
.LBB1_63:                               ;   in Loop: Header=BB1_31 Depth=1
	s_wait_xcnt 0x0
	s_or_b32 exec_lo, exec_lo, s0
	v_add_nc_u32_e32 v9, 8, v8
	s_mov_b32 s0, exec_lo
	v_cmpx_gt_u32_e32 8, v20
	s_xor_b32 s4, exec_lo, s0
	s_cbranch_execz .LBB1_69
; %bb.64:                               ;   in Loop: Header=BB1_31 Depth=1
	v_mov_b64_e32 v[18:19], 0
	s_mov_b32 s5, exec_lo
	v_cmpx_ne_u32_e32 0, v20
	s_cbranch_execz .LBB1_68
; %bb.65:                               ;   in Loop: Header=BB1_31 Depth=1
	v_mov_b64_e32 v[18:19], 0
	s_mov_b64 s[0:1], 0
	s_mov_b32 s10, 0
	s_mov_b32 s11, 0
.LBB1_66:                               ;   Parent Loop BB1_31 Depth=1
                                        ; =>  This Inner Loop Header: Depth=2
	scratch_load_u8 v9, v8, s11
	v_mov_b32_e32 v23, s7
	s_wait_xcnt 0x0
	s_add_co_i32 s11, s11, 1
	s_delay_alu instid0(SALU_CYCLE_1) | instskip(SKIP_3) | instid1(VALU_DEP_1)
	v_cmp_eq_u32_e32 vcc_lo, s11, v20
	s_or_b32 s10, vcc_lo, s10
	s_wait_loadcnt 0x0
	v_and_b32_e32 v22, 0xffff, v9
	v_lshlrev_b64_e32 v[22:23], s0, v[22:23]
	s_add_nc_u64 s[0:1], s[0:1], 8
	s_delay_alu instid0(VALU_DEP_1) | instskip(NEXT) | instid1(VALU_DEP_2)
	v_or_b32_e32 v19, v23, v19
	v_or_b32_e32 v18, v22, v18
	s_and_not1_b32 exec_lo, exec_lo, s10
	s_cbranch_execnz .LBB1_66
; %bb.67:                               ;   in Loop: Header=BB1_31 Depth=1
	s_or_b32 exec_lo, exec_lo, s10
.LBB1_68:                               ;   in Loop: Header=BB1_31 Depth=1
	s_delay_alu instid0(SALU_CYCLE_1)
	s_or_b32 exec_lo, exec_lo, s5
	v_mov_b32_e32 v9, v8
                                        ; implicit-def: $vgpr20
.LBB1_69:                               ;   in Loop: Header=BB1_31 Depth=1
	s_or_saveexec_b32 s0, s4
	v_mov_b32_e32 v22, 0
	s_xor_b32 exec_lo, exec_lo, s0
	s_cbranch_execz .LBB1_71
; %bb.70:                               ;   in Loop: Header=BB1_31 Depth=1
	scratch_load_b64 v[18:19], v8, off
	v_add_nc_u32_e32 v22, -8, v20
.LBB1_71:                               ;   in Loop: Header=BB1_31 Depth=1
	s_wait_xcnt 0x0
	s_or_b32 exec_lo, exec_lo, s0
	v_add_nc_u32_e32 v8, 8, v9
                                        ; implicit-def: $vgpr20_vgpr21
	s_mov_b32 s0, exec_lo
	v_cmpx_gt_u32_e32 8, v22
	s_xor_b32 s4, exec_lo, s0
	s_cbranch_execz .LBB1_77
; %bb.72:                               ;   in Loop: Header=BB1_31 Depth=1
	v_mov_b64_e32 v[20:21], 0
	s_mov_b32 s5, exec_lo
	v_cmpx_ne_u32_e32 0, v22
	s_cbranch_execz .LBB1_76
; %bb.73:                               ;   in Loop: Header=BB1_31 Depth=1
	v_mov_b64_e32 v[20:21], 0
	s_mov_b64 s[0:1], 0
	s_mov_b32 s10, 0
	s_mov_b32 s11, 0
.LBB1_74:                               ;   Parent Loop BB1_31 Depth=1
                                        ; =>  This Inner Loop Header: Depth=2
	scratch_load_u8 v8, v9, s11
	v_mov_b32_e32 v25, s7
	s_wait_xcnt 0x0
	s_add_co_i32 s11, s11, 1
	s_delay_alu instid0(SALU_CYCLE_1) | instskip(SKIP_3) | instid1(VALU_DEP_1)
	v_cmp_eq_u32_e32 vcc_lo, s11, v22
	s_or_b32 s10, vcc_lo, s10
	s_wait_loadcnt 0x0
	v_and_b32_e32 v24, 0xffff, v8
	v_lshlrev_b64_e32 v[24:25], s0, v[24:25]
	s_add_nc_u64 s[0:1], s[0:1], 8
	s_delay_alu instid0(VALU_DEP_1) | instskip(NEXT) | instid1(VALU_DEP_2)
	v_or_b32_e32 v21, v25, v21
	v_or_b32_e32 v20, v24, v20
	s_and_not1_b32 exec_lo, exec_lo, s10
	s_cbranch_execnz .LBB1_74
; %bb.75:                               ;   in Loop: Header=BB1_31 Depth=1
	s_or_b32 exec_lo, exec_lo, s10
.LBB1_76:                               ;   in Loop: Header=BB1_31 Depth=1
	s_delay_alu instid0(SALU_CYCLE_1)
	s_or_b32 exec_lo, exec_lo, s5
	v_mov_b32_e32 v8, v9
                                        ; implicit-def: $vgpr22
.LBB1_77:                               ;   in Loop: Header=BB1_31 Depth=1
	s_or_saveexec_b32 s0, s4
	v_mov_b32_e32 v24, 0
	s_xor_b32 exec_lo, exec_lo, s0
	s_cbranch_execz .LBB1_79
; %bb.78:                               ;   in Loop: Header=BB1_31 Depth=1
	scratch_load_b64 v[20:21], v9, off
	v_add_nc_u32_e32 v24, -8, v22
.LBB1_79:                               ;   in Loop: Header=BB1_31 Depth=1
	s_wait_xcnt 0x0
	s_or_b32 exec_lo, exec_lo, s0
	s_delay_alu instid0(SALU_CYCLE_1) | instskip(NEXT) | instid1(VALU_DEP_1)
	s_mov_b32 s0, exec_lo
	v_cmpx_gt_u32_e32 8, v24
	s_xor_b32 s4, exec_lo, s0
	s_cbranch_execz .LBB1_85
; %bb.80:                               ;   in Loop: Header=BB1_31 Depth=1
	v_mov_b64_e32 v[22:23], 0
	s_mov_b32 s5, exec_lo
	v_cmpx_ne_u32_e32 0, v24
	s_cbranch_execz .LBB1_84
; %bb.81:                               ;   in Loop: Header=BB1_31 Depth=1
	v_mov_b64_e32 v[22:23], 0
	s_mov_b64 s[0:1], 0
	s_mov_b32 s10, 0
.LBB1_82:                               ;   Parent Loop BB1_31 Depth=1
                                        ; =>  This Inner Loop Header: Depth=2
	scratch_load_u8 v9, v8, off
	v_dual_mov_b32 v27, s7 :: v_dual_add_nc_u32 v24, -1, v24
	s_delay_alu instid0(VALU_DEP_1) | instskip(SKIP_3) | instid1(VALU_DEP_1)
	v_cmp_eq_u32_e32 vcc_lo, 0, v24
	s_or_b32 s10, vcc_lo, s10
	s_wait_loadcnt 0x0
	v_and_b32_e32 v26, 0xffff, v9
	v_lshlrev_b64_e32 v[26:27], s0, v[26:27]
	s_wait_xcnt 0x0
	v_add_nc_u32_e32 v8, 1, v8
	s_add_nc_u64 s[0:1], s[0:1], 8
	s_delay_alu instid0(VALU_DEP_2) | instskip(NEXT) | instid1(VALU_DEP_3)
	v_or_b32_e32 v23, v27, v23
	v_or_b32_e32 v22, v26, v22
	s_and_not1_b32 exec_lo, exec_lo, s10
	s_cbranch_execnz .LBB1_82
; %bb.83:                               ;   in Loop: Header=BB1_31 Depth=1
	s_or_b32 exec_lo, exec_lo, s10
.LBB1_84:                               ;   in Loop: Header=BB1_31 Depth=1
	s_delay_alu instid0(SALU_CYCLE_1)
	s_or_b32 exec_lo, exec_lo, s5
                                        ; implicit-def: $vgpr8
.LBB1_85:                               ;   in Loop: Header=BB1_31 Depth=1
	s_and_not1_saveexec_b32 s0, s4
	s_cbranch_execz .LBB1_87
; %bb.86:                               ;   in Loop: Header=BB1_31 Depth=1
	scratch_load_b64 v[22:23], v8, off
.LBB1_87:                               ;   in Loop: Header=BB1_31 Depth=1
	s_wait_xcnt 0x0
	s_or_b32 exec_lo, exec_lo, s0
	v_readfirstlane_b32 s0, v48
	v_mov_b64_e32 v[8:9], 0
	s_delay_alu instid0(VALU_DEP_2)
	v_cmp_eq_u32_e64 s0, s0, v48
	s_and_saveexec_b32 s1, s0
	s_cbranch_execz .LBB1_93
; %bb.88:                               ;   in Loop: Header=BB1_31 Depth=1
	global_load_b64 v[26:27], v31, s[2:3] offset:24 scope:SCOPE_SYS
	s_wait_loadcnt 0x0
	global_inv scope:SCOPE_SYS
	s_clause 0x1
	global_load_b64 v[8:9], v31, s[2:3] offset:40
	global_load_b64 v[24:25], v31, s[2:3]
	s_mov_b32 s4, exec_lo
	s_wait_loadcnt 0x1
	v_and_b32_e32 v8, v8, v26
	v_and_b32_e32 v9, v9, v27
	s_delay_alu instid0(VALU_DEP_1) | instskip(SKIP_1) | instid1(VALU_DEP_1)
	v_mul_u64_e32 v[8:9], 24, v[8:9]
	s_wait_loadcnt 0x0
	v_add_nc_u64_e32 v[8:9], v[24:25], v[8:9]
	global_load_b64 v[24:25], v[8:9], off scope:SCOPE_SYS
	s_wait_xcnt 0x0
	s_wait_loadcnt 0x0
	global_atomic_cmpswap_b64 v[8:9], v31, v[24:27], s[2:3] offset:24 th:TH_ATOMIC_RETURN scope:SCOPE_SYS
	s_wait_loadcnt 0x0
	global_inv scope:SCOPE_SYS
	s_wait_xcnt 0x0
	v_cmpx_ne_u64_e64 v[8:9], v[26:27]
	s_cbranch_execz .LBB1_92
; %bb.89:                               ;   in Loop: Header=BB1_31 Depth=1
	s_mov_b32 s5, 0
.LBB1_90:                               ;   Parent Loop BB1_31 Depth=1
                                        ; =>  This Inner Loop Header: Depth=2
	s_sleep 1
	s_clause 0x1
	global_load_b64 v[24:25], v31, s[2:3] offset:40
	global_load_b64 v[36:37], v31, s[2:3]
	v_mov_b64_e32 v[26:27], v[8:9]
	s_wait_loadcnt 0x1
	s_delay_alu instid0(VALU_DEP_1) | instskip(NEXT) | instid1(VALU_DEP_2)
	v_and_b32_e32 v8, v24, v26
	v_and_b32_e32 v24, v25, v27
	s_wait_loadcnt 0x0
	s_delay_alu instid0(VALU_DEP_2) | instskip(NEXT) | instid1(VALU_DEP_1)
	v_mad_nc_u64_u32 v[8:9], v8, 24, v[36:37]
	v_mad_u32 v9, v24, 24, v9
	global_load_b64 v[24:25], v[8:9], off scope:SCOPE_SYS
	s_wait_xcnt 0x0
	s_wait_loadcnt 0x0
	global_atomic_cmpswap_b64 v[8:9], v31, v[24:27], s[2:3] offset:24 th:TH_ATOMIC_RETURN scope:SCOPE_SYS
	s_wait_loadcnt 0x0
	global_inv scope:SCOPE_SYS
	v_cmp_eq_u64_e32 vcc_lo, v[8:9], v[26:27]
	s_or_b32 s5, vcc_lo, s5
	s_wait_xcnt 0x0
	s_and_not1_b32 exec_lo, exec_lo, s5
	s_cbranch_execnz .LBB1_90
; %bb.91:                               ;   in Loop: Header=BB1_31 Depth=1
	s_or_b32 exec_lo, exec_lo, s5
.LBB1_92:                               ;   in Loop: Header=BB1_31 Depth=1
	s_delay_alu instid0(SALU_CYCLE_1)
	s_or_b32 exec_lo, exec_lo, s4
.LBB1_93:                               ;   in Loop: Header=BB1_31 Depth=1
	s_delay_alu instid0(SALU_CYCLE_1)
	s_or_b32 exec_lo, exec_lo, s1
	s_clause 0x1
	global_load_b64 v[36:37], v31, s[2:3] offset:40
	global_load_b128 v[24:27], v31, s[2:3]
	v_readfirstlane_b32 s4, v8
	v_readfirstlane_b32 s5, v9
	s_mov_b32 s1, exec_lo
	s_wait_loadcnt 0x1
	v_and_b32_e32 v38, s4, v36
	v_and_b32_e32 v39, s5, v37
	s_delay_alu instid0(VALU_DEP_1) | instskip(SKIP_1) | instid1(VALU_DEP_1)
	v_mul_u64_e32 v[8:9], 24, v[38:39]
	s_wait_loadcnt 0x0
	v_add_nc_u64_e32 v[36:37], v[24:25], v[8:9]
	s_wait_xcnt 0x0
	s_and_saveexec_b32 s10, s0
	s_cbranch_execz .LBB1_95
; %bb.94:                               ;   in Loop: Header=BB1_31 Depth=1
	v_dual_mov_b32 v8, s1 :: v_dual_mov_b32 v9, v31
	global_store_b128 v[36:37], v[8:11], off offset:8
.LBB1_95:                               ;   in Loop: Header=BB1_31 Depth=1
	s_wait_xcnt 0x0
	s_or_b32 exec_lo, exec_lo, s10
	v_cmp_gt_u64_e32 vcc_lo, 57, v[32:33]
	v_lshlrev_b64_e32 v[8:9], 12, v[38:39]
	v_and_b32_e32 v0, 0xffffff1f, v0
	v_lshl_add_u32 v39, v34, 2, 28
	v_cndmask_b32_e32 v38, 0, v28, vcc_lo
	s_delay_alu instid0(VALU_DEP_4) | instskip(NEXT) | instid1(VALU_DEP_2)
	v_add_nc_u64_e32 v[8:9], v[26:27], v[8:9]
	v_or_b32_e32 v0, v0, v38
	s_delay_alu instid0(VALU_DEP_2) | instskip(NEXT) | instid1(VALU_DEP_3)
	v_readfirstlane_b32 s10, v8
	v_readfirstlane_b32 s11, v9
	s_delay_alu instid0(VALU_DEP_3)
	v_and_or_b32 v0, 0x1e0, v39, v0
	s_clause 0x3
	global_store_b128 v30, v[0:3], s[10:11]
	global_store_b128 v30, v[12:15], s[10:11] offset:16
	global_store_b128 v30, v[16:19], s[10:11] offset:32
	;; [unrolled: 1-line block ×3, first 2 shown]
	s_wait_xcnt 0x0
	s_and_saveexec_b32 s1, s0
	s_cbranch_execz .LBB1_103
; %bb.96:                               ;   in Loop: Header=BB1_31 Depth=1
	s_clause 0x1
	global_load_b64 v[16:17], v31, s[2:3] offset:32 scope:SCOPE_SYS
	global_load_b64 v[0:1], v31, s[2:3] offset:40
	s_mov_b32 s10, exec_lo
	v_dual_mov_b32 v14, s4 :: v_dual_mov_b32 v15, s5
	s_wait_loadcnt 0x0
	v_and_b32_e32 v1, s5, v1
	v_and_b32_e32 v0, s4, v0
	s_delay_alu instid0(VALU_DEP_1) | instskip(NEXT) | instid1(VALU_DEP_1)
	v_mul_u64_e32 v[0:1], 24, v[0:1]
	v_add_nc_u64_e32 v[12:13], v[24:25], v[0:1]
	global_store_b64 v[12:13], v[16:17], off
	global_wb scope:SCOPE_SYS
	s_wait_storecnt 0x0
	s_wait_xcnt 0x0
	global_atomic_cmpswap_b64 v[2:3], v31, v[14:17], s[2:3] offset:32 th:TH_ATOMIC_RETURN scope:SCOPE_SYS
	s_wait_loadcnt 0x0
	v_cmpx_ne_u64_e64 v[2:3], v[16:17]
	s_cbranch_execz .LBB1_99
; %bb.97:                               ;   in Loop: Header=BB1_31 Depth=1
	s_mov_b32 s11, 0
.LBB1_98:                               ;   Parent Loop BB1_31 Depth=1
                                        ; =>  This Inner Loop Header: Depth=2
	v_dual_mov_b32 v0, s4 :: v_dual_mov_b32 v1, s5
	s_sleep 1
	global_store_b64 v[12:13], v[2:3], off
	global_wb scope:SCOPE_SYS
	s_wait_storecnt 0x0
	s_wait_xcnt 0x0
	global_atomic_cmpswap_b64 v[0:1], v31, v[0:3], s[2:3] offset:32 th:TH_ATOMIC_RETURN scope:SCOPE_SYS
	s_wait_loadcnt 0x0
	v_cmp_eq_u64_e32 vcc_lo, v[0:1], v[2:3]
	v_mov_b64_e32 v[2:3], v[0:1]
	s_or_b32 s11, vcc_lo, s11
	s_delay_alu instid0(SALU_CYCLE_1)
	s_and_not1_b32 exec_lo, exec_lo, s11
	s_cbranch_execnz .LBB1_98
.LBB1_99:                               ;   in Loop: Header=BB1_31 Depth=1
	s_or_b32 exec_lo, exec_lo, s10
	global_load_b64 v[0:1], v31, s[2:3] offset:16
	s_mov_b32 s11, exec_lo
	s_mov_b32 s10, exec_lo
	v_mbcnt_lo_u32_b32 v2, s11, 0
	s_wait_xcnt 0x0
	s_delay_alu instid0(VALU_DEP_1)
	v_cmpx_eq_u32_e32 0, v2
	s_cbranch_execz .LBB1_101
; %bb.100:                              ;   in Loop: Header=BB1_31 Depth=1
	s_bcnt1_i32_b32 s11, s11
	s_delay_alu instid0(SALU_CYCLE_1)
	v_dual_mov_b32 v3, v31 :: v_dual_mov_b32 v2, s11
	global_wb scope:SCOPE_SYS
	s_wait_loadcnt 0x0
	s_wait_storecnt 0x0
	global_atomic_add_u64 v[0:1], v[2:3], off offset:8 scope:SCOPE_SYS
.LBB1_101:                              ;   in Loop: Header=BB1_31 Depth=1
	s_wait_xcnt 0x0
	s_or_b32 exec_lo, exec_lo, s10
	s_wait_loadcnt 0x0
	global_load_b64 v[2:3], v[0:1], off offset:16
	s_wait_loadcnt 0x0
	v_cmp_eq_u64_e32 vcc_lo, 0, v[2:3]
	s_cbranch_vccnz .LBB1_103
; %bb.102:                              ;   in Loop: Header=BB1_31 Depth=1
	global_load_b32 v0, v[0:1], off offset:24
	s_wait_xcnt 0x0
	v_mov_b32_e32 v1, v31
	s_wait_loadcnt 0x0
	v_readfirstlane_b32 s10, v0
	global_wb scope:SCOPE_SYS
	s_wait_storecnt 0x0
	global_store_b64 v[2:3], v[0:1], off scope:SCOPE_SYS
	s_and_b32 m0, s10, 0xffffff
	s_sendmsg sendmsg(MSG_INTERRUPT)
.LBB1_103:                              ;   in Loop: Header=BB1_31 Depth=1
	s_wait_xcnt 0x0
	s_or_b32 exec_lo, exec_lo, s1
	v_add_nc_u64_e32 v[0:1], v[8:9], v[30:31]
	s_branch .LBB1_107
.LBB1_104:                              ;   in Loop: Header=BB1_107 Depth=2
	s_wait_xcnt 0x0
	s_or_b32 exec_lo, exec_lo, s1
	s_delay_alu instid0(VALU_DEP_1)
	v_readfirstlane_b32 s1, v2
	s_cmp_eq_u32 s1, 0
	s_cbranch_scc1 .LBB1_106
; %bb.105:                              ;   in Loop: Header=BB1_107 Depth=2
	s_sleep 1
	s_cbranch_execnz .LBB1_107
	s_branch .LBB1_109
.LBB1_106:                              ;   in Loop: Header=BB1_31 Depth=1
	s_branch .LBB1_109
.LBB1_107:                              ;   Parent Loop BB1_31 Depth=1
                                        ; =>  This Inner Loop Header: Depth=2
	v_mov_b32_e32 v2, 1
	s_and_saveexec_b32 s1, s0
	s_cbranch_execz .LBB1_104
; %bb.108:                              ;   in Loop: Header=BB1_107 Depth=2
	global_load_b32 v2, v[36:37], off offset:20 scope:SCOPE_SYS
	s_wait_loadcnt 0x0
	global_inv scope:SCOPE_SYS
	v_and_b32_e32 v2, 1, v2
	s_branch .LBB1_104
.LBB1_109:                              ;   in Loop: Header=BB1_31 Depth=1
	global_load_b64 v[0:1], v[0:1], off
	s_wait_xcnt 0x0
	s_and_saveexec_b32 s10, s0
	s_cbranch_execz .LBB1_30
; %bb.110:                              ;   in Loop: Header=BB1_31 Depth=1
	s_clause 0x2
	global_load_b64 v[2:3], v31, s[2:3] offset:40
	global_load_b64 v[16:17], v31, s[2:3] offset:24 scope:SCOPE_SYS
	global_load_b64 v[8:9], v31, s[2:3]
	s_wait_loadcnt 0x2
	v_readfirstlane_b32 s12, v2
	v_readfirstlane_b32 s13, v3
	s_add_nc_u64 s[0:1], s[12:13], 1
	s_delay_alu instid0(SALU_CYCLE_1) | instskip(NEXT) | instid1(SALU_CYCLE_1)
	s_add_nc_u64 s[4:5], s[0:1], s[4:5]
	s_cmp_eq_u64 s[4:5], 0
	s_cselect_b32 s1, s1, s5
	s_cselect_b32 s0, s0, s4
	s_delay_alu instid0(SALU_CYCLE_1) | instskip(SKIP_1) | instid1(SALU_CYCLE_1)
	v_dual_mov_b32 v15, s1 :: v_dual_mov_b32 v14, s0
	s_and_b64 s[4:5], s[0:1], s[12:13]
	s_mul_u64 s[4:5], s[4:5], 24
	s_wait_loadcnt 0x0
	v_add_nc_u64_e32 v[2:3], s[4:5], v[8:9]
	global_store_b64 v[2:3], v[16:17], off
	global_wb scope:SCOPE_SYS
	s_wait_storecnt 0x0
	s_wait_xcnt 0x0
	global_atomic_cmpswap_b64 v[14:15], v31, v[14:17], s[2:3] offset:24 th:TH_ATOMIC_RETURN scope:SCOPE_SYS
	s_wait_loadcnt 0x0
	v_cmp_ne_u64_e32 vcc_lo, v[14:15], v[16:17]
	s_and_b32 exec_lo, exec_lo, vcc_lo
	s_cbranch_execz .LBB1_30
; %bb.111:                              ;   in Loop: Header=BB1_31 Depth=1
	s_mov_b32 s4, 0
.LBB1_112:                              ;   Parent Loop BB1_31 Depth=1
                                        ; =>  This Inner Loop Header: Depth=2
	v_dual_mov_b32 v12, s0 :: v_dual_mov_b32 v13, s1
	s_sleep 1
	global_store_b64 v[2:3], v[14:15], off
	global_wb scope:SCOPE_SYS
	s_wait_storecnt 0x0
	s_wait_xcnt 0x0
	global_atomic_cmpswap_b64 v[8:9], v31, v[12:15], s[2:3] offset:24 th:TH_ATOMIC_RETURN scope:SCOPE_SYS
	s_wait_loadcnt 0x0
	v_cmp_eq_u64_e32 vcc_lo, v[8:9], v[14:15]
	v_mov_b64_e32 v[14:15], v[8:9]
	s_or_b32 s4, vcc_lo, s4
	s_delay_alu instid0(SALU_CYCLE_1)
	s_and_not1_b32 exec_lo, exec_lo, s4
	s_cbranch_execnz .LBB1_112
	s_branch .LBB1_30
.LBB1_113:
                                        ; implicit-def: $vgpr0_vgpr1
	s_cbranch_execnz .LBB1_193
.LBB1_114:
	s_get_pc_i64 s[4:5]
	s_add_nc_u64 s[4:5], s[4:5], .str.4@rel64+4
	s_delay_alu instid0(SALU_CYCLE_1)
	s_cmp_lg_u64 s[4:5], 0
	s_cbranch_scc0 .LBB1_221
.LBB1_115:
	v_mov_b64_e32 v[12:13], 0x100000002
	s_get_pc_i64 s[0:1]
	s_add_nc_u64 s[0:1], s[0:1], .str.4@rel64+80
	s_wait_loadcnt 0x0
	v_dual_mov_b32 v11, 0 :: v_dual_bitop2_b32 v2, 2, v0 bitop3:0x40
	v_dual_mov_b32 v7, v1 :: v_dual_bitop2_b32 v6, -3, v0 bitop3:0x40
	s_sub_co_i32 s6, s0, s4
	s_delay_alu instid0(SALU_CYCLE_1)
	s_ashr_i32 s7, s6, 31
	s_branch .LBB1_117
.LBB1_116:                              ;   in Loop: Header=BB1_117 Depth=1
	s_or_b32 exec_lo, exec_lo, s14
	s_sub_nc_u64 s[6:7], s[6:7], s[10:11]
	s_add_nc_u64 s[4:5], s[4:5], s[10:11]
	s_cmp_lg_u64 s[6:7], 0
	s_cbranch_scc0 .LBB1_215
.LBB1_117:                              ; =>This Loop Header: Depth=1
                                        ;     Child Loop BB1_120 Depth 2
                                        ;     Child Loop BB1_127 Depth 2
	;; [unrolled: 1-line block ×11, first 2 shown]
	v_min_u64 v[8:9], s[6:7], 56
	v_cmp_gt_u64_e64 s0, s[6:7], 7
	s_and_b32 vcc_lo, exec_lo, s0
	v_readfirstlane_b32 s10, v8
	v_readfirstlane_b32 s11, v9
	s_cbranch_vccnz .LBB1_122
; %bb.118:                              ;   in Loop: Header=BB1_117 Depth=1
	v_mov_b64_e32 v[8:9], 0
	s_cmp_eq_u64 s[6:7], 0
	s_cbranch_scc1 .LBB1_121
; %bb.119:                              ;   in Loop: Header=BB1_117 Depth=1
	s_mov_b64 s[0:1], 0
	s_mov_b64 s[12:13], 0
.LBB1_120:                              ;   Parent Loop BB1_117 Depth=1
                                        ; =>  This Inner Loop Header: Depth=2
	s_wait_xcnt 0x0
	s_add_nc_u64 s[14:15], s[4:5], s[12:13]
	s_add_nc_u64 s[12:13], s[12:13], 1
	global_load_u8 v3, v11, s[14:15]
	s_cmp_lg_u32 s10, s12
	s_wait_loadcnt 0x0
	v_and_b32_e32 v10, 0xffff, v3
	s_delay_alu instid0(VALU_DEP_1) | instskip(SKIP_1) | instid1(VALU_DEP_1)
	v_lshlrev_b64_e32 v[14:15], s0, v[10:11]
	s_add_nc_u64 s[0:1], s[0:1], 8
	v_or_b32_e32 v8, v14, v8
	s_delay_alu instid0(VALU_DEP_2)
	v_or_b32_e32 v9, v15, v9
	s_cbranch_scc1 .LBB1_120
.LBB1_121:                              ;   in Loop: Header=BB1_117 Depth=1
	s_mov_b64 s[12:13], s[4:5]
	s_mov_b32 s16, 0
	s_cbranch_execz .LBB1_123
	s_branch .LBB1_124
.LBB1_122:                              ;   in Loop: Header=BB1_117 Depth=1
	s_add_nc_u64 s[12:13], s[4:5], 8
	s_mov_b32 s16, 0
.LBB1_123:                              ;   in Loop: Header=BB1_117 Depth=1
	global_load_b64 v[8:9], v11, s[4:5]
	s_add_co_i32 s16, s10, -8
.LBB1_124:                              ;   in Loop: Header=BB1_117 Depth=1
	s_delay_alu instid0(SALU_CYCLE_1)
	s_cmp_gt_u32 s16, 7
	s_cbranch_scc1 .LBB1_129
; %bb.125:                              ;   in Loop: Header=BB1_117 Depth=1
	v_mov_b64_e32 v[14:15], 0
	s_cmp_eq_u32 s16, 0
	s_cbranch_scc1 .LBB1_128
; %bb.126:                              ;   in Loop: Header=BB1_117 Depth=1
	s_mov_b64 s[0:1], 0
	s_wait_xcnt 0x0
	s_mov_b64 s[14:15], 0
.LBB1_127:                              ;   Parent Loop BB1_117 Depth=1
                                        ; =>  This Inner Loop Header: Depth=2
	s_wait_xcnt 0x0
	s_add_nc_u64 s[18:19], s[12:13], s[14:15]
	s_add_nc_u64 s[14:15], s[14:15], 1
	global_load_u8 v3, v11, s[18:19]
	s_cmp_lg_u32 s16, s14
	s_wait_loadcnt 0x0
	v_and_b32_e32 v10, 0xffff, v3
	s_delay_alu instid0(VALU_DEP_1) | instskip(SKIP_1) | instid1(VALU_DEP_1)
	v_lshlrev_b64_e32 v[16:17], s0, v[10:11]
	s_add_nc_u64 s[0:1], s[0:1], 8
	v_or_b32_e32 v14, v16, v14
	s_delay_alu instid0(VALU_DEP_2)
	v_or_b32_e32 v15, v17, v15
	s_cbranch_scc1 .LBB1_127
.LBB1_128:                              ;   in Loop: Header=BB1_117 Depth=1
	s_wait_xcnt 0x0
	s_mov_b64 s[0:1], s[12:13]
	s_mov_b32 s17, 0
	s_cbranch_execz .LBB1_130
	s_branch .LBB1_131
.LBB1_129:                              ;   in Loop: Header=BB1_117 Depth=1
	s_add_nc_u64 s[0:1], s[12:13], 8
	s_wait_xcnt 0x0
                                        ; implicit-def: $vgpr14_vgpr15
	s_mov_b32 s17, 0
.LBB1_130:                              ;   in Loop: Header=BB1_117 Depth=1
	global_load_b64 v[14:15], v11, s[12:13]
	s_add_co_i32 s17, s16, -8
.LBB1_131:                              ;   in Loop: Header=BB1_117 Depth=1
	s_delay_alu instid0(SALU_CYCLE_1)
	s_cmp_gt_u32 s17, 7
	s_cbranch_scc1 .LBB1_136
; %bb.132:                              ;   in Loop: Header=BB1_117 Depth=1
	v_mov_b64_e32 v[16:17], 0
	s_cmp_eq_u32 s17, 0
	s_cbranch_scc1 .LBB1_135
; %bb.133:                              ;   in Loop: Header=BB1_117 Depth=1
	s_wait_xcnt 0x0
	s_mov_b64 s[12:13], 0
	s_mov_b64 s[14:15], 0
.LBB1_134:                              ;   Parent Loop BB1_117 Depth=1
                                        ; =>  This Inner Loop Header: Depth=2
	s_wait_xcnt 0x0
	s_add_nc_u64 s[18:19], s[0:1], s[14:15]
	s_add_nc_u64 s[14:15], s[14:15], 1
	global_load_u8 v3, v11, s[18:19]
	s_cmp_lg_u32 s17, s14
	s_wait_loadcnt 0x0
	v_and_b32_e32 v10, 0xffff, v3
	s_delay_alu instid0(VALU_DEP_1) | instskip(SKIP_1) | instid1(VALU_DEP_1)
	v_lshlrev_b64_e32 v[18:19], s12, v[10:11]
	s_add_nc_u64 s[12:13], s[12:13], 8
	v_or_b32_e32 v16, v18, v16
	s_delay_alu instid0(VALU_DEP_2)
	v_or_b32_e32 v17, v19, v17
	s_cbranch_scc1 .LBB1_134
.LBB1_135:                              ;   in Loop: Header=BB1_117 Depth=1
	s_wait_xcnt 0x0
	s_mov_b64 s[12:13], s[0:1]
	s_mov_b32 s16, 0
	s_cbranch_execz .LBB1_137
	s_branch .LBB1_138
.LBB1_136:                              ;   in Loop: Header=BB1_117 Depth=1
	s_wait_xcnt 0x0
	s_add_nc_u64 s[12:13], s[0:1], 8
	s_mov_b32 s16, 0
.LBB1_137:                              ;   in Loop: Header=BB1_117 Depth=1
	global_load_b64 v[16:17], v11, s[0:1]
	s_add_co_i32 s16, s17, -8
.LBB1_138:                              ;   in Loop: Header=BB1_117 Depth=1
	s_delay_alu instid0(SALU_CYCLE_1)
	s_cmp_gt_u32 s16, 7
	s_cbranch_scc1 .LBB1_143
; %bb.139:                              ;   in Loop: Header=BB1_117 Depth=1
	v_mov_b64_e32 v[18:19], 0
	s_cmp_eq_u32 s16, 0
	s_cbranch_scc1 .LBB1_142
; %bb.140:                              ;   in Loop: Header=BB1_117 Depth=1
	s_wait_xcnt 0x0
	s_mov_b64 s[0:1], 0
	s_mov_b64 s[14:15], 0
.LBB1_141:                              ;   Parent Loop BB1_117 Depth=1
                                        ; =>  This Inner Loop Header: Depth=2
	s_wait_xcnt 0x0
	s_add_nc_u64 s[18:19], s[12:13], s[14:15]
	s_add_nc_u64 s[14:15], s[14:15], 1
	global_load_u8 v3, v11, s[18:19]
	s_cmp_lg_u32 s16, s14
	s_wait_loadcnt 0x0
	v_and_b32_e32 v10, 0xffff, v3
	s_delay_alu instid0(VALU_DEP_1) | instskip(SKIP_1) | instid1(VALU_DEP_1)
	v_lshlrev_b64_e32 v[20:21], s0, v[10:11]
	s_add_nc_u64 s[0:1], s[0:1], 8
	v_or_b32_e32 v18, v20, v18
	s_delay_alu instid0(VALU_DEP_2)
	v_or_b32_e32 v19, v21, v19
	s_cbranch_scc1 .LBB1_141
.LBB1_142:                              ;   in Loop: Header=BB1_117 Depth=1
	s_wait_xcnt 0x0
	s_mov_b64 s[0:1], s[12:13]
	s_mov_b32 s17, 0
	s_cbranch_execz .LBB1_144
	s_branch .LBB1_145
.LBB1_143:                              ;   in Loop: Header=BB1_117 Depth=1
	s_wait_xcnt 0x0
	s_add_nc_u64 s[0:1], s[12:13], 8
                                        ; implicit-def: $vgpr18_vgpr19
	s_mov_b32 s17, 0
.LBB1_144:                              ;   in Loop: Header=BB1_117 Depth=1
	global_load_b64 v[18:19], v11, s[12:13]
	s_add_co_i32 s17, s16, -8
.LBB1_145:                              ;   in Loop: Header=BB1_117 Depth=1
	s_delay_alu instid0(SALU_CYCLE_1)
	s_cmp_gt_u32 s17, 7
	s_cbranch_scc1 .LBB1_150
; %bb.146:                              ;   in Loop: Header=BB1_117 Depth=1
	v_mov_b64_e32 v[20:21], 0
	s_cmp_eq_u32 s17, 0
	s_cbranch_scc1 .LBB1_149
; %bb.147:                              ;   in Loop: Header=BB1_117 Depth=1
	s_wait_xcnt 0x0
	s_mov_b64 s[12:13], 0
	s_mov_b64 s[14:15], 0
.LBB1_148:                              ;   Parent Loop BB1_117 Depth=1
                                        ; =>  This Inner Loop Header: Depth=2
	s_wait_xcnt 0x0
	s_add_nc_u64 s[18:19], s[0:1], s[14:15]
	s_add_nc_u64 s[14:15], s[14:15], 1
	global_load_u8 v3, v11, s[18:19]
	s_cmp_lg_u32 s17, s14
	s_wait_loadcnt 0x0
	v_and_b32_e32 v10, 0xffff, v3
	s_delay_alu instid0(VALU_DEP_1) | instskip(SKIP_1) | instid1(VALU_DEP_1)
	v_lshlrev_b64_e32 v[22:23], s12, v[10:11]
	s_add_nc_u64 s[12:13], s[12:13], 8
	v_or_b32_e32 v20, v22, v20
	s_delay_alu instid0(VALU_DEP_2)
	v_or_b32_e32 v21, v23, v21
	s_cbranch_scc1 .LBB1_148
.LBB1_149:                              ;   in Loop: Header=BB1_117 Depth=1
	s_wait_xcnt 0x0
	s_mov_b64 s[12:13], s[0:1]
	s_mov_b32 s16, 0
	s_cbranch_execz .LBB1_151
	s_branch .LBB1_152
.LBB1_150:                              ;   in Loop: Header=BB1_117 Depth=1
	s_wait_xcnt 0x0
	s_add_nc_u64 s[12:13], s[0:1], 8
	s_mov_b32 s16, 0
.LBB1_151:                              ;   in Loop: Header=BB1_117 Depth=1
	global_load_b64 v[20:21], v11, s[0:1]
	s_add_co_i32 s16, s17, -8
.LBB1_152:                              ;   in Loop: Header=BB1_117 Depth=1
	s_delay_alu instid0(SALU_CYCLE_1)
	s_cmp_gt_u32 s16, 7
	s_cbranch_scc1 .LBB1_157
; %bb.153:                              ;   in Loop: Header=BB1_117 Depth=1
	v_mov_b64_e32 v[22:23], 0
	s_cmp_eq_u32 s16, 0
	s_cbranch_scc1 .LBB1_156
; %bb.154:                              ;   in Loop: Header=BB1_117 Depth=1
	s_wait_xcnt 0x0
	s_mov_b64 s[0:1], 0
	s_mov_b64 s[14:15], 0
.LBB1_155:                              ;   Parent Loop BB1_117 Depth=1
                                        ; =>  This Inner Loop Header: Depth=2
	s_wait_xcnt 0x0
	s_add_nc_u64 s[18:19], s[12:13], s[14:15]
	s_add_nc_u64 s[14:15], s[14:15], 1
	global_load_u8 v3, v11, s[18:19]
	s_cmp_lg_u32 s16, s14
	s_wait_loadcnt 0x0
	v_and_b32_e32 v10, 0xffff, v3
	s_delay_alu instid0(VALU_DEP_1) | instskip(SKIP_1) | instid1(VALU_DEP_1)
	v_lshlrev_b64_e32 v[24:25], s0, v[10:11]
	s_add_nc_u64 s[0:1], s[0:1], 8
	v_or_b32_e32 v22, v24, v22
	s_delay_alu instid0(VALU_DEP_2)
	v_or_b32_e32 v23, v25, v23
	s_cbranch_scc1 .LBB1_155
.LBB1_156:                              ;   in Loop: Header=BB1_117 Depth=1
	s_wait_xcnt 0x0
	s_mov_b64 s[0:1], s[12:13]
	s_mov_b32 s17, 0
	s_cbranch_execz .LBB1_158
	s_branch .LBB1_159
.LBB1_157:                              ;   in Loop: Header=BB1_117 Depth=1
	s_wait_xcnt 0x0
	s_add_nc_u64 s[0:1], s[12:13], 8
                                        ; implicit-def: $vgpr22_vgpr23
	s_mov_b32 s17, 0
.LBB1_158:                              ;   in Loop: Header=BB1_117 Depth=1
	global_load_b64 v[22:23], v11, s[12:13]
	s_add_co_i32 s17, s16, -8
.LBB1_159:                              ;   in Loop: Header=BB1_117 Depth=1
	s_delay_alu instid0(SALU_CYCLE_1)
	s_cmp_gt_u32 s17, 7
	s_cbranch_scc1 .LBB1_164
; %bb.160:                              ;   in Loop: Header=BB1_117 Depth=1
	v_mov_b64_e32 v[24:25], 0
	s_cmp_eq_u32 s17, 0
	s_cbranch_scc1 .LBB1_163
; %bb.161:                              ;   in Loop: Header=BB1_117 Depth=1
	s_wait_xcnt 0x0
	s_mov_b64 s[12:13], 0
	s_mov_b64 s[14:15], s[0:1]
.LBB1_162:                              ;   Parent Loop BB1_117 Depth=1
                                        ; =>  This Inner Loop Header: Depth=2
	global_load_u8 v3, v11, s[14:15]
	s_add_co_i32 s17, s17, -1
	s_wait_xcnt 0x0
	s_add_nc_u64 s[14:15], s[14:15], 1
	s_cmp_lg_u32 s17, 0
	s_wait_loadcnt 0x0
	v_and_b32_e32 v10, 0xffff, v3
	s_delay_alu instid0(VALU_DEP_1) | instskip(SKIP_1) | instid1(VALU_DEP_1)
	v_lshlrev_b64_e32 v[26:27], s12, v[10:11]
	s_add_nc_u64 s[12:13], s[12:13], 8
	v_or_b32_e32 v24, v26, v24
	s_delay_alu instid0(VALU_DEP_2)
	v_or_b32_e32 v25, v27, v25
	s_cbranch_scc1 .LBB1_162
.LBB1_163:                              ;   in Loop: Header=BB1_117 Depth=1
	s_wait_xcnt 0x0
	s_cbranch_execz .LBB1_165
	s_branch .LBB1_166
.LBB1_164:                              ;   in Loop: Header=BB1_117 Depth=1
	s_wait_xcnt 0x0
.LBB1_165:                              ;   in Loop: Header=BB1_117 Depth=1
	global_load_b64 v[24:25], v11, s[0:1]
.LBB1_166:                              ;   in Loop: Header=BB1_117 Depth=1
	s_wait_xcnt 0x0
	v_readfirstlane_b32 s0, v48
	v_mov_b64_e32 v[32:33], 0
	s_delay_alu instid0(VALU_DEP_2)
	v_cmp_eq_u32_e64 s0, s0, v48
	s_and_saveexec_b32 s1, s0
	s_cbranch_execz .LBB1_172
; %bb.167:                              ;   in Loop: Header=BB1_117 Depth=1
	global_load_b64 v[28:29], v11, s[2:3] offset:24 scope:SCOPE_SYS
	s_wait_loadcnt 0x0
	global_inv scope:SCOPE_SYS
	s_clause 0x1
	global_load_b64 v[26:27], v11, s[2:3] offset:40
	global_load_b64 v[32:33], v11, s[2:3]
	s_mov_b32 s12, exec_lo
	s_wait_loadcnt 0x1
	v_and_b32_e32 v26, v26, v28
	v_and_b32_e32 v27, v27, v29
	s_delay_alu instid0(VALU_DEP_1) | instskip(SKIP_1) | instid1(VALU_DEP_1)
	v_mul_u64_e32 v[26:27], 24, v[26:27]
	s_wait_loadcnt 0x0
	v_add_nc_u64_e32 v[26:27], v[32:33], v[26:27]
	global_load_b64 v[26:27], v[26:27], off scope:SCOPE_SYS
	s_wait_xcnt 0x0
	s_wait_loadcnt 0x0
	global_atomic_cmpswap_b64 v[32:33], v11, v[26:29], s[2:3] offset:24 th:TH_ATOMIC_RETURN scope:SCOPE_SYS
	s_wait_loadcnt 0x0
	global_inv scope:SCOPE_SYS
	s_wait_xcnt 0x0
	v_cmpx_ne_u64_e64 v[32:33], v[28:29]
	s_cbranch_execz .LBB1_171
; %bb.168:                              ;   in Loop: Header=BB1_117 Depth=1
	s_mov_b32 s13, 0
.LBB1_169:                              ;   Parent Loop BB1_117 Depth=1
                                        ; =>  This Inner Loop Header: Depth=2
	s_sleep 1
	s_clause 0x1
	global_load_b64 v[26:27], v11, s[2:3] offset:40
	global_load_b64 v[34:35], v11, s[2:3]
	v_mov_b64_e32 v[28:29], v[32:33]
	s_wait_loadcnt 0x1
	s_delay_alu instid0(VALU_DEP_1) | instskip(SKIP_1) | instid1(VALU_DEP_1)
	v_and_b32_e32 v3, v26, v28
	s_wait_loadcnt 0x0
	v_mad_nc_u64_u32 v[32:33], v3, 24, v[34:35]
	s_delay_alu instid0(VALU_DEP_3) | instskip(NEXT) | instid1(VALU_DEP_1)
	v_and_b32_e32 v3, v27, v29
	v_mad_u32 v33, v3, 24, v33
	global_load_b64 v[26:27], v[32:33], off scope:SCOPE_SYS
	s_wait_xcnt 0x0
	s_wait_loadcnt 0x0
	global_atomic_cmpswap_b64 v[32:33], v11, v[26:29], s[2:3] offset:24 th:TH_ATOMIC_RETURN scope:SCOPE_SYS
	s_wait_loadcnt 0x0
	global_inv scope:SCOPE_SYS
	v_cmp_eq_u64_e32 vcc_lo, v[32:33], v[28:29]
	s_or_b32 s13, vcc_lo, s13
	s_wait_xcnt 0x0
	s_and_not1_b32 exec_lo, exec_lo, s13
	s_cbranch_execnz .LBB1_169
; %bb.170:                              ;   in Loop: Header=BB1_117 Depth=1
	s_or_b32 exec_lo, exec_lo, s13
.LBB1_171:                              ;   in Loop: Header=BB1_117 Depth=1
	s_delay_alu instid0(SALU_CYCLE_1)
	s_or_b32 exec_lo, exec_lo, s12
.LBB1_172:                              ;   in Loop: Header=BB1_117 Depth=1
	s_delay_alu instid0(SALU_CYCLE_1)
	s_or_b32 exec_lo, exec_lo, s1
	s_clause 0x1
	global_load_b64 v[34:35], v11, s[2:3] offset:40
	global_load_b128 v[26:29], v11, s[2:3]
	v_readfirstlane_b32 s12, v32
	v_readfirstlane_b32 s13, v33
	s_mov_b32 s1, exec_lo
	s_wait_loadcnt 0x1
	v_and_b32_e32 v34, s12, v34
	v_and_b32_e32 v35, s13, v35
	s_delay_alu instid0(VALU_DEP_1) | instskip(SKIP_1) | instid1(VALU_DEP_1)
	v_mul_u64_e32 v[32:33], 24, v[34:35]
	s_wait_loadcnt 0x0
	v_add_nc_u64_e32 v[32:33], v[26:27], v[32:33]
	s_wait_xcnt 0x0
	s_and_saveexec_b32 s14, s0
	s_cbranch_execz .LBB1_174
; %bb.173:                              ;   in Loop: Header=BB1_117 Depth=1
	v_mov_b32_e32 v10, s1
	global_store_b128 v[32:33], v[10:13], off offset:8
.LBB1_174:                              ;   in Loop: Header=BB1_117 Depth=1
	s_wait_xcnt 0x0
	s_or_b32 exec_lo, exec_lo, s14
	v_cmp_lt_u64_e64 vcc_lo, s[6:7], 57
	v_lshlrev_b64_e32 v[34:35], 12, v[34:35]
	v_and_b32_e32 v6, 0xffffff1f, v6
	s_lshl_b32 s1, s10, 2
	s_delay_alu instid0(SALU_CYCLE_1) | instskip(SKIP_1) | instid1(VALU_DEP_3)
	s_add_co_i32 s1, s1, 28
	v_cndmask_b32_e32 v3, 0, v2, vcc_lo
	v_add_nc_u64_e32 v[28:29], v[28:29], v[34:35]
	s_delay_alu instid0(VALU_DEP_2) | instskip(NEXT) | instid1(VALU_DEP_2)
	v_or_b32_e32 v3, v6, v3
	v_readfirstlane_b32 s14, v28
	s_delay_alu instid0(VALU_DEP_3) | instskip(NEXT) | instid1(VALU_DEP_3)
	v_readfirstlane_b32 s15, v29
	v_and_or_b32 v6, 0x1e0, s1, v3
	s_clause 0x3
	global_store_b128 v30, v[6:9], s[14:15]
	global_store_b128 v30, v[14:17], s[14:15] offset:16
	global_store_b128 v30, v[18:21], s[14:15] offset:32
	;; [unrolled: 1-line block ×3, first 2 shown]
	s_wait_xcnt 0x0
	s_and_saveexec_b32 s1, s0
	s_cbranch_execz .LBB1_182
; %bb.175:                              ;   in Loop: Header=BB1_117 Depth=1
	s_clause 0x1
	global_load_b64 v[18:19], v11, s[2:3] offset:32 scope:SCOPE_SYS
	global_load_b64 v[6:7], v11, s[2:3] offset:40
	s_mov_b32 s14, exec_lo
	v_dual_mov_b32 v16, s12 :: v_dual_mov_b32 v17, s13
	s_wait_loadcnt 0x0
	v_and_b32_e32 v7, s13, v7
	v_and_b32_e32 v6, s12, v6
	s_delay_alu instid0(VALU_DEP_1) | instskip(NEXT) | instid1(VALU_DEP_1)
	v_mul_u64_e32 v[6:7], 24, v[6:7]
	v_add_nc_u64_e32 v[14:15], v[26:27], v[6:7]
	global_store_b64 v[14:15], v[18:19], off
	global_wb scope:SCOPE_SYS
	s_wait_storecnt 0x0
	s_wait_xcnt 0x0
	global_atomic_cmpswap_b64 v[8:9], v11, v[16:19], s[2:3] offset:32 th:TH_ATOMIC_RETURN scope:SCOPE_SYS
	s_wait_loadcnt 0x0
	v_cmpx_ne_u64_e64 v[8:9], v[18:19]
	s_cbranch_execz .LBB1_178
; %bb.176:                              ;   in Loop: Header=BB1_117 Depth=1
	s_mov_b32 s15, 0
.LBB1_177:                              ;   Parent Loop BB1_117 Depth=1
                                        ; =>  This Inner Loop Header: Depth=2
	v_dual_mov_b32 v6, s12 :: v_dual_mov_b32 v7, s13
	s_sleep 1
	global_store_b64 v[14:15], v[8:9], off
	global_wb scope:SCOPE_SYS
	s_wait_storecnt 0x0
	s_wait_xcnt 0x0
	global_atomic_cmpswap_b64 v[6:7], v11, v[6:9], s[2:3] offset:32 th:TH_ATOMIC_RETURN scope:SCOPE_SYS
	s_wait_loadcnt 0x0
	v_cmp_eq_u64_e32 vcc_lo, v[6:7], v[8:9]
	v_mov_b64_e32 v[8:9], v[6:7]
	s_or_b32 s15, vcc_lo, s15
	s_delay_alu instid0(SALU_CYCLE_1)
	s_and_not1_b32 exec_lo, exec_lo, s15
	s_cbranch_execnz .LBB1_177
.LBB1_178:                              ;   in Loop: Header=BB1_117 Depth=1
	s_or_b32 exec_lo, exec_lo, s14
	global_load_b64 v[6:7], v11, s[2:3] offset:16
	s_mov_b32 s15, exec_lo
	s_mov_b32 s14, exec_lo
	v_mbcnt_lo_u32_b32 v3, s15, 0
	s_wait_xcnt 0x0
	s_delay_alu instid0(VALU_DEP_1)
	v_cmpx_eq_u32_e32 0, v3
	s_cbranch_execz .LBB1_180
; %bb.179:                              ;   in Loop: Header=BB1_117 Depth=1
	s_bcnt1_i32_b32 s15, s15
	s_delay_alu instid0(SALU_CYCLE_1)
	v_mov_b32_e32 v10, s15
	global_wb scope:SCOPE_SYS
	s_wait_loadcnt 0x0
	s_wait_storecnt 0x0
	global_atomic_add_u64 v[6:7], v[10:11], off offset:8 scope:SCOPE_SYS
.LBB1_180:                              ;   in Loop: Header=BB1_117 Depth=1
	s_wait_xcnt 0x0
	s_or_b32 exec_lo, exec_lo, s14
	s_wait_loadcnt 0x0
	global_load_b64 v[8:9], v[6:7], off offset:16
	s_wait_loadcnt 0x0
	v_cmp_eq_u64_e32 vcc_lo, 0, v[8:9]
	s_cbranch_vccnz .LBB1_182
; %bb.181:                              ;   in Loop: Header=BB1_117 Depth=1
	global_load_b32 v10, v[6:7], off offset:24
	s_wait_loadcnt 0x0
	v_readfirstlane_b32 s14, v10
	global_wb scope:SCOPE_SYS
	s_wait_storecnt 0x0
	s_wait_xcnt 0x0
	global_store_b64 v[8:9], v[10:11], off scope:SCOPE_SYS
	s_and_b32 m0, s14, 0xffffff
	s_sendmsg sendmsg(MSG_INTERRUPT)
.LBB1_182:                              ;   in Loop: Header=BB1_117 Depth=1
	s_wait_xcnt 0x0
	s_or_b32 exec_lo, exec_lo, s1
	v_mov_b32_e32 v31, v11
	s_delay_alu instid0(VALU_DEP_1)
	v_add_nc_u64_e32 v[6:7], v[28:29], v[30:31]
	s_branch .LBB1_186
.LBB1_183:                              ;   in Loop: Header=BB1_186 Depth=2
	s_wait_xcnt 0x0
	s_or_b32 exec_lo, exec_lo, s1
	s_delay_alu instid0(VALU_DEP_1)
	v_readfirstlane_b32 s1, v3
	s_cmp_eq_u32 s1, 0
	s_cbranch_scc1 .LBB1_185
; %bb.184:                              ;   in Loop: Header=BB1_186 Depth=2
	s_sleep 1
	s_cbranch_execnz .LBB1_186
	s_branch .LBB1_188
.LBB1_185:                              ;   in Loop: Header=BB1_117 Depth=1
	s_branch .LBB1_188
.LBB1_186:                              ;   Parent Loop BB1_117 Depth=1
                                        ; =>  This Inner Loop Header: Depth=2
	v_mov_b32_e32 v3, 1
	s_and_saveexec_b32 s1, s0
	s_cbranch_execz .LBB1_183
; %bb.187:                              ;   in Loop: Header=BB1_186 Depth=2
	global_load_b32 v3, v[32:33], off offset:20 scope:SCOPE_SYS
	s_wait_loadcnt 0x0
	global_inv scope:SCOPE_SYS
	v_and_b32_e32 v3, 1, v3
	s_branch .LBB1_183
.LBB1_188:                              ;   in Loop: Header=BB1_117 Depth=1
	global_load_b64 v[6:7], v[6:7], off
	s_wait_xcnt 0x0
	s_and_saveexec_b32 s14, s0
	s_cbranch_execz .LBB1_116
; %bb.189:                              ;   in Loop: Header=BB1_117 Depth=1
	s_clause 0x2
	global_load_b64 v[8:9], v11, s[2:3] offset:40
	global_load_b64 v[18:19], v11, s[2:3] offset:24 scope:SCOPE_SYS
	global_load_b64 v[14:15], v11, s[2:3]
	s_wait_loadcnt 0x2
	v_readfirstlane_b32 s16, v8
	v_readfirstlane_b32 s17, v9
	s_add_nc_u64 s[0:1], s[16:17], 1
	s_delay_alu instid0(SALU_CYCLE_1) | instskip(NEXT) | instid1(SALU_CYCLE_1)
	s_add_nc_u64 s[12:13], s[0:1], s[12:13]
	s_cmp_eq_u64 s[12:13], 0
	s_cselect_b32 s1, s1, s13
	s_cselect_b32 s0, s0, s12
	s_delay_alu instid0(SALU_CYCLE_1) | instskip(SKIP_1) | instid1(SALU_CYCLE_1)
	v_dual_mov_b32 v17, s1 :: v_dual_mov_b32 v16, s0
	s_and_b64 s[12:13], s[0:1], s[16:17]
	s_mul_u64 s[12:13], s[12:13], 24
	s_wait_loadcnt 0x0
	v_add_nc_u64_e32 v[8:9], s[12:13], v[14:15]
	global_store_b64 v[8:9], v[18:19], off
	global_wb scope:SCOPE_SYS
	s_wait_storecnt 0x0
	s_wait_xcnt 0x0
	global_atomic_cmpswap_b64 v[16:17], v11, v[16:19], s[2:3] offset:24 th:TH_ATOMIC_RETURN scope:SCOPE_SYS
	s_wait_loadcnt 0x0
	v_cmp_ne_u64_e32 vcc_lo, v[16:17], v[18:19]
	s_and_b32 exec_lo, exec_lo, vcc_lo
	s_cbranch_execz .LBB1_116
; %bb.190:                              ;   in Loop: Header=BB1_117 Depth=1
	s_mov_b32 s12, 0
.LBB1_191:                              ;   Parent Loop BB1_117 Depth=1
                                        ; =>  This Inner Loop Header: Depth=2
	v_dual_mov_b32 v14, s0 :: v_dual_mov_b32 v15, s1
	s_sleep 1
	global_store_b64 v[8:9], v[16:17], off
	global_wb scope:SCOPE_SYS
	s_wait_storecnt 0x0
	s_wait_xcnt 0x0
	global_atomic_cmpswap_b64 v[14:15], v11, v[14:17], s[2:3] offset:24 th:TH_ATOMIC_RETURN scope:SCOPE_SYS
	s_wait_loadcnt 0x0
	v_cmp_eq_u64_e32 vcc_lo, v[14:15], v[16:17]
	v_mov_b64_e32 v[16:17], v[14:15]
	s_or_b32 s12, vcc_lo, s12
	s_delay_alu instid0(SALU_CYCLE_1)
	s_and_not1_b32 exec_lo, exec_lo, s12
	s_cbranch_execnz .LBB1_191
	s_branch .LBB1_116
.LBB1_192:
	s_or_b32 exec_lo, exec_lo, s6
	s_branch .LBB1_114
.LBB1_193:
	v_readfirstlane_b32 s0, v48
	v_mov_b64_e32 v[8:9], 0
	s_delay_alu instid0(VALU_DEP_2)
	v_cmp_eq_u32_e64 s0, s0, v48
	s_and_saveexec_b32 s1, s0
	s_cbranch_execz .LBB1_199
; %bb.194:
	s_wait_loadcnt 0x0
	v_mov_b32_e32 v0, 0
	s_mov_b32 s4, exec_lo
	global_load_b64 v[10:11], v0, s[2:3] offset:24 scope:SCOPE_SYS
	s_wait_loadcnt 0x0
	global_inv scope:SCOPE_SYS
	s_clause 0x1
	global_load_b64 v[2:3], v0, s[2:3] offset:40
	global_load_b64 v[8:9], v0, s[2:3]
	s_wait_loadcnt 0x1
	v_and_b32_e32 v2, v2, v10
	v_and_b32_e32 v3, v3, v11
	s_delay_alu instid0(VALU_DEP_1) | instskip(SKIP_1) | instid1(VALU_DEP_1)
	v_mul_u64_e32 v[2:3], 24, v[2:3]
	s_wait_loadcnt 0x0
	v_add_nc_u64_e32 v[2:3], v[8:9], v[2:3]
	global_load_b64 v[8:9], v[2:3], off scope:SCOPE_SYS
	s_wait_xcnt 0x0
	s_wait_loadcnt 0x0
	global_atomic_cmpswap_b64 v[8:9], v0, v[8:11], s[2:3] offset:24 th:TH_ATOMIC_RETURN scope:SCOPE_SYS
	s_wait_loadcnt 0x0
	global_inv scope:SCOPE_SYS
	s_wait_xcnt 0x0
	v_cmpx_ne_u64_e64 v[8:9], v[10:11]
	s_cbranch_execz .LBB1_198
; %bb.195:
	s_mov_b32 s5, 0
.LBB1_196:                              ; =>This Inner Loop Header: Depth=1
	s_sleep 1
	s_clause 0x1
	global_load_b64 v[2:3], v0, s[2:3] offset:40
	global_load_b64 v[12:13], v0, s[2:3]
	v_mov_b64_e32 v[10:11], v[8:9]
	s_wait_loadcnt 0x1
	s_delay_alu instid0(VALU_DEP_1) | instskip(SKIP_1) | instid1(VALU_DEP_1)
	v_and_b32_e32 v1, v2, v10
	s_wait_loadcnt 0x0
	v_mad_nc_u64_u32 v[8:9], v1, 24, v[12:13]
	s_delay_alu instid0(VALU_DEP_3) | instskip(NEXT) | instid1(VALU_DEP_1)
	v_and_b32_e32 v1, v3, v11
	v_mad_u32 v9, v1, 24, v9
	global_load_b64 v[8:9], v[8:9], off scope:SCOPE_SYS
	s_wait_xcnt 0x0
	s_wait_loadcnt 0x0
	global_atomic_cmpswap_b64 v[8:9], v0, v[8:11], s[2:3] offset:24 th:TH_ATOMIC_RETURN scope:SCOPE_SYS
	s_wait_loadcnt 0x0
	global_inv scope:SCOPE_SYS
	v_cmp_eq_u64_e32 vcc_lo, v[8:9], v[10:11]
	s_or_b32 s5, vcc_lo, s5
	s_wait_xcnt 0x0
	s_and_not1_b32 exec_lo, exec_lo, s5
	s_cbranch_execnz .LBB1_196
; %bb.197:
	s_or_b32 exec_lo, exec_lo, s5
.LBB1_198:
	s_delay_alu instid0(SALU_CYCLE_1)
	s_or_b32 exec_lo, exec_lo, s4
.LBB1_199:
	s_delay_alu instid0(SALU_CYCLE_1)
	s_or_b32 exec_lo, exec_lo, s1
	v_readfirstlane_b32 s4, v8
	v_mov_b32_e32 v31, 0
	v_readfirstlane_b32 s5, v9
	s_mov_b32 s1, exec_lo
	global_load_b64 v[10:11], v31, s[2:3] offset:40
	s_wait_loadcnt 0x1
	global_load_b128 v[0:3], v31, s[2:3]
	s_wait_loadcnt 0x1
	v_and_b32_e32 v8, s4, v10
	v_and_b32_e32 v9, s5, v11
	s_delay_alu instid0(VALU_DEP_1) | instskip(SKIP_1) | instid1(VALU_DEP_1)
	v_mul_u64_e32 v[10:11], 24, v[8:9]
	s_wait_loadcnt 0x0
	v_add_nc_u64_e32 v[10:11], v[0:1], v[10:11]
	s_wait_xcnt 0x0
	s_and_saveexec_b32 s6, s0
	s_cbranch_execz .LBB1_201
; %bb.200:
	v_mov_b64_e32 v[14:15], 0x100000002
	v_dual_mov_b32 v12, s1 :: v_dual_mov_b32 v13, v31
	global_store_b128 v[10:11], v[12:15], off offset:8
.LBB1_201:
	s_wait_xcnt 0x0
	s_or_b32 exec_lo, exec_lo, s6
	v_lshlrev_b64_e32 v[8:9], 12, v[8:9]
	s_mov_b32 s12, 0
	v_and_or_b32 v6, 0xffffff1f, v6, 32
	s_mov_b32 s14, s12
	s_mov_b32 s15, s12
	;; [unrolled: 1-line block ×3, first 2 shown]
	v_mov_b64_e32 v[16:17], s[14:15]
	v_add_nc_u64_e32 v[12:13], v[2:3], v[8:9]
	v_mov_b64_e32 v[14:15], s[12:13]
	v_dual_mov_b32 v8, v31 :: v_dual_mov_b32 v9, v31
	s_delay_alu instid0(VALU_DEP_3) | instskip(NEXT) | instid1(VALU_DEP_4)
	v_readfirstlane_b32 s6, v12
	v_readfirstlane_b32 s7, v13
	s_clause 0x3
	global_store_b128 v30, v[6:9], s[6:7]
	global_store_b128 v30, v[14:17], s[6:7] offset:16
	global_store_b128 v30, v[14:17], s[6:7] offset:32
	;; [unrolled: 1-line block ×3, first 2 shown]
	s_wait_xcnt 0x0
	s_and_saveexec_b32 s1, s0
	s_cbranch_execz .LBB1_209
; %bb.202:
	v_dual_mov_b32 v8, 0 :: v_dual_mov_b32 v15, s5
	s_mov_b32 s6, exec_lo
	s_clause 0x1
	global_load_b64 v[16:17], v8, s[2:3] offset:32 scope:SCOPE_SYS
	global_load_b64 v[2:3], v8, s[2:3] offset:40
	s_wait_loadcnt 0x0
	v_dual_mov_b32 v14, s4 :: v_dual_bitop2_b32 v3, s5, v3 bitop3:0x40
	v_and_b32_e32 v2, s4, v2
	s_delay_alu instid0(VALU_DEP_1) | instskip(NEXT) | instid1(VALU_DEP_1)
	v_mul_u64_e32 v[2:3], 24, v[2:3]
	v_add_nc_u64_e32 v[6:7], v[0:1], v[2:3]
	global_store_b64 v[6:7], v[16:17], off
	global_wb scope:SCOPE_SYS
	s_wait_storecnt 0x0
	s_wait_xcnt 0x0
	global_atomic_cmpswap_b64 v[2:3], v8, v[14:17], s[2:3] offset:32 th:TH_ATOMIC_RETURN scope:SCOPE_SYS
	s_wait_loadcnt 0x0
	v_cmpx_ne_u64_e64 v[2:3], v[16:17]
	s_cbranch_execz .LBB1_205
; %bb.203:
	s_mov_b32 s7, 0
.LBB1_204:                              ; =>This Inner Loop Header: Depth=1
	v_dual_mov_b32 v0, s4 :: v_dual_mov_b32 v1, s5
	s_sleep 1
	global_store_b64 v[6:7], v[2:3], off
	global_wb scope:SCOPE_SYS
	s_wait_storecnt 0x0
	s_wait_xcnt 0x0
	global_atomic_cmpswap_b64 v[0:1], v8, v[0:3], s[2:3] offset:32 th:TH_ATOMIC_RETURN scope:SCOPE_SYS
	s_wait_loadcnt 0x0
	v_cmp_eq_u64_e32 vcc_lo, v[0:1], v[2:3]
	v_mov_b64_e32 v[2:3], v[0:1]
	s_or_b32 s7, vcc_lo, s7
	s_delay_alu instid0(SALU_CYCLE_1)
	s_and_not1_b32 exec_lo, exec_lo, s7
	s_cbranch_execnz .LBB1_204
.LBB1_205:
	s_or_b32 exec_lo, exec_lo, s6
	v_mov_b32_e32 v3, 0
	s_mov_b32 s7, exec_lo
	s_mov_b32 s6, exec_lo
	v_mbcnt_lo_u32_b32 v2, s7, 0
	global_load_b64 v[0:1], v3, s[2:3] offset:16
	s_wait_xcnt 0x0
	v_cmpx_eq_u32_e32 0, v2
	s_cbranch_execz .LBB1_207
; %bb.206:
	s_bcnt1_i32_b32 s7, s7
	s_delay_alu instid0(SALU_CYCLE_1)
	v_mov_b32_e32 v2, s7
	global_wb scope:SCOPE_SYS
	s_wait_loadcnt 0x0
	s_wait_storecnt 0x0
	global_atomic_add_u64 v[0:1], v[2:3], off offset:8 scope:SCOPE_SYS
.LBB1_207:
	s_wait_xcnt 0x0
	s_or_b32 exec_lo, exec_lo, s6
	s_wait_loadcnt 0x0
	global_load_b64 v[2:3], v[0:1], off offset:16
	s_wait_loadcnt 0x0
	v_cmp_eq_u64_e32 vcc_lo, 0, v[2:3]
	s_cbranch_vccnz .LBB1_209
; %bb.208:
	global_load_b32 v0, v[0:1], off offset:24
	s_wait_xcnt 0x0
	v_mov_b32_e32 v1, 0
	s_wait_loadcnt 0x0
	v_readfirstlane_b32 s6, v0
	global_wb scope:SCOPE_SYS
	s_wait_storecnt 0x0
	global_store_b64 v[2:3], v[0:1], off scope:SCOPE_SYS
	s_and_b32 m0, s6, 0xffffff
	s_sendmsg sendmsg(MSG_INTERRUPT)
.LBB1_209:
	s_wait_xcnt 0x0
	s_or_b32 exec_lo, exec_lo, s1
	v_add_nc_u64_e32 v[0:1], v[12:13], v[30:31]
	s_branch .LBB1_213
.LBB1_210:                              ;   in Loop: Header=BB1_213 Depth=1
	s_wait_xcnt 0x0
	s_or_b32 exec_lo, exec_lo, s1
	s_delay_alu instid0(VALU_DEP_1)
	v_readfirstlane_b32 s1, v2
	s_cmp_eq_u32 s1, 0
	s_cbranch_scc1 .LBB1_212
; %bb.211:                              ;   in Loop: Header=BB1_213 Depth=1
	s_sleep 1
	s_cbranch_execnz .LBB1_213
	s_branch .LBB1_216
.LBB1_212:
	s_branch .LBB1_216
.LBB1_213:                              ; =>This Inner Loop Header: Depth=1
	v_mov_b32_e32 v2, 1
	s_and_saveexec_b32 s1, s0
	s_cbranch_execz .LBB1_210
; %bb.214:                              ;   in Loop: Header=BB1_213 Depth=1
	global_load_b32 v2, v[10:11], off offset:20 scope:SCOPE_SYS
	s_wait_loadcnt 0x0
	global_inv scope:SCOPE_SYS
	v_and_b32_e32 v2, 1, v2
	s_branch .LBB1_210
.LBB1_215:
	s_branch .LBB1_249
.LBB1_216:
	global_load_b64 v[0:1], v[0:1], off
	s_wait_xcnt 0x0
	s_and_saveexec_b32 s6, s0
	s_cbranch_execz .LBB1_220
; %bb.217:
	v_mov_b32_e32 v10, 0
	s_clause 0x2
	global_load_b64 v[2:3], v10, s[2:3] offset:40
	global_load_b64 v[14:15], v10, s[2:3] offset:24 scope:SCOPE_SYS
	global_load_b64 v[6:7], v10, s[2:3]
	s_wait_loadcnt 0x2
	v_readfirstlane_b32 s10, v2
	v_readfirstlane_b32 s11, v3
	s_add_nc_u64 s[0:1], s[10:11], 1
	s_delay_alu instid0(SALU_CYCLE_1) | instskip(NEXT) | instid1(SALU_CYCLE_1)
	s_add_nc_u64 s[4:5], s[0:1], s[4:5]
	s_cmp_eq_u64 s[4:5], 0
	s_cselect_b32 s1, s1, s5
	s_cselect_b32 s0, s0, s4
	v_mov_b32_e32 v13, s1
	s_and_b64 s[4:5], s[0:1], s[10:11]
	v_mov_b32_e32 v12, s0
	s_mul_u64 s[4:5], s[4:5], 24
	s_wait_loadcnt 0x0
	v_add_nc_u64_e32 v[2:3], s[4:5], v[6:7]
	global_store_b64 v[2:3], v[14:15], off
	global_wb scope:SCOPE_SYS
	s_wait_storecnt 0x0
	s_wait_xcnt 0x0
	global_atomic_cmpswap_b64 v[8:9], v10, v[12:15], s[2:3] offset:24 th:TH_ATOMIC_RETURN scope:SCOPE_SYS
	s_wait_loadcnt 0x0
	v_cmp_ne_u64_e32 vcc_lo, v[8:9], v[14:15]
	s_and_b32 exec_lo, exec_lo, vcc_lo
	s_cbranch_execz .LBB1_220
; %bb.218:
	s_mov_b32 s4, 0
.LBB1_219:                              ; =>This Inner Loop Header: Depth=1
	v_dual_mov_b32 v6, s0 :: v_dual_mov_b32 v7, s1
	s_sleep 1
	global_store_b64 v[2:3], v[8:9], off
	global_wb scope:SCOPE_SYS
	s_wait_storecnt 0x0
	s_wait_xcnt 0x0
	global_atomic_cmpswap_b64 v[6:7], v10, v[6:9], s[2:3] offset:24 th:TH_ATOMIC_RETURN scope:SCOPE_SYS
	s_wait_loadcnt 0x0
	v_cmp_eq_u64_e32 vcc_lo, v[6:7], v[8:9]
	v_mov_b64_e32 v[8:9], v[6:7]
	s_or_b32 s4, vcc_lo, s4
	s_delay_alu instid0(SALU_CYCLE_1)
	s_and_not1_b32 exec_lo, exec_lo, s4
	s_cbranch_execnz .LBB1_219
.LBB1_220:
	s_or_b32 exec_lo, exec_lo, s6
	s_get_pc_i64 s[4:5]
	s_add_nc_u64 s[4:5], s[4:5], .str.4@rel64+4
	s_delay_alu instid0(SALU_CYCLE_1)
	s_cmp_lg_u64 s[4:5], 0
	s_cbranch_scc1 .LBB1_115
.LBB1_221:
                                        ; implicit-def: $vgpr6_vgpr7
	s_cbranch_execz .LBB1_249
; %bb.222:
	v_readfirstlane_b32 s0, v48
	v_mov_b64_e32 v[2:3], 0
	s_delay_alu instid0(VALU_DEP_2)
	v_cmp_eq_u32_e64 s0, s0, v48
	s_and_saveexec_b32 s1, s0
	s_cbranch_execz .LBB1_228
; %bb.223:
	s_wait_loadcnt 0x0
	v_mov_b32_e32 v6, 0
	s_mov_b32 s4, exec_lo
	global_load_b64 v[10:11], v6, s[2:3] offset:24 scope:SCOPE_SYS
	s_wait_loadcnt 0x0
	global_inv scope:SCOPE_SYS
	s_clause 0x1
	global_load_b64 v[2:3], v6, s[2:3] offset:40
	global_load_b64 v[8:9], v6, s[2:3]
	s_wait_loadcnt 0x1
	v_and_b32_e32 v2, v2, v10
	v_and_b32_e32 v3, v3, v11
	s_delay_alu instid0(VALU_DEP_1) | instskip(SKIP_1) | instid1(VALU_DEP_1)
	v_mul_u64_e32 v[2:3], 24, v[2:3]
	s_wait_loadcnt 0x0
	v_add_nc_u64_e32 v[2:3], v[8:9], v[2:3]
	global_load_b64 v[8:9], v[2:3], off scope:SCOPE_SYS
	s_wait_xcnt 0x0
	s_wait_loadcnt 0x0
	global_atomic_cmpswap_b64 v[2:3], v6, v[8:11], s[2:3] offset:24 th:TH_ATOMIC_RETURN scope:SCOPE_SYS
	s_wait_loadcnt 0x0
	global_inv scope:SCOPE_SYS
	s_wait_xcnt 0x0
	v_cmpx_ne_u64_e64 v[2:3], v[10:11]
	s_cbranch_execz .LBB1_227
; %bb.224:
	s_mov_b32 s5, 0
.LBB1_225:                              ; =>This Inner Loop Header: Depth=1
	s_sleep 1
	s_clause 0x1
	global_load_b64 v[8:9], v6, s[2:3] offset:40
	global_load_b64 v[12:13], v6, s[2:3]
	v_mov_b64_e32 v[10:11], v[2:3]
	s_wait_loadcnt 0x1
	s_delay_alu instid0(VALU_DEP_1) | instskip(NEXT) | instid1(VALU_DEP_2)
	v_and_b32_e32 v2, v8, v10
	v_and_b32_e32 v7, v9, v11
	s_wait_loadcnt 0x0
	s_delay_alu instid0(VALU_DEP_2) | instskip(NEXT) | instid1(VALU_DEP_1)
	v_mad_nc_u64_u32 v[2:3], v2, 24, v[12:13]
	v_mad_u32 v3, v7, 24, v3
	global_load_b64 v[8:9], v[2:3], off scope:SCOPE_SYS
	s_wait_xcnt 0x0
	s_wait_loadcnt 0x0
	global_atomic_cmpswap_b64 v[2:3], v6, v[8:11], s[2:3] offset:24 th:TH_ATOMIC_RETURN scope:SCOPE_SYS
	s_wait_loadcnt 0x0
	global_inv scope:SCOPE_SYS
	v_cmp_eq_u64_e32 vcc_lo, v[2:3], v[10:11]
	s_or_b32 s5, vcc_lo, s5
	s_wait_xcnt 0x0
	s_and_not1_b32 exec_lo, exec_lo, s5
	s_cbranch_execnz .LBB1_225
; %bb.226:
	s_or_b32 exec_lo, exec_lo, s5
.LBB1_227:
	s_delay_alu instid0(SALU_CYCLE_1)
	s_or_b32 exec_lo, exec_lo, s4
.LBB1_228:
	s_delay_alu instid0(SALU_CYCLE_1)
	s_or_b32 exec_lo, exec_lo, s1
	v_readfirstlane_b32 s4, v2
	v_mov_b32_e32 v31, 0
	v_readfirstlane_b32 s5, v3
	s_mov_b32 s1, exec_lo
	global_load_b64 v[10:11], v31, s[2:3] offset:40
	s_wait_loadcnt 0x1
	global_load_b128 v[6:9], v31, s[2:3]
	s_wait_loadcnt 0x1
	v_and_b32_e32 v2, s4, v10
	v_and_b32_e32 v3, s5, v11
	s_delay_alu instid0(VALU_DEP_1) | instskip(SKIP_1) | instid1(VALU_DEP_1)
	v_mul_u64_e32 v[10:11], 24, v[2:3]
	s_wait_loadcnt 0x0
	v_add_nc_u64_e32 v[10:11], v[6:7], v[10:11]
	s_wait_xcnt 0x0
	s_and_saveexec_b32 s6, s0
	s_cbranch_execz .LBB1_230
; %bb.229:
	v_mov_b64_e32 v[14:15], 0x100000002
	v_dual_mov_b32 v12, s1 :: v_dual_mov_b32 v13, v31
	global_store_b128 v[10:11], v[12:15], off offset:8
.LBB1_230:
	s_wait_xcnt 0x0
	s_or_b32 exec_lo, exec_lo, s6
	v_lshlrev_b64_e32 v[2:3], 12, v[2:3]
	s_mov_b32 s12, 0
	v_and_or_b32 v0, 0xffffff1f, v0, 32
	s_mov_b32 s13, s12
	s_mov_b32 s14, s12
	;; [unrolled: 1-line block ×3, first 2 shown]
	v_mov_b64_e32 v[12:13], s[12:13]
	v_add_nc_u64_e32 v[8:9], v[8:9], v[2:3]
	v_mov_b64_e32 v[14:15], s[14:15]
	v_dual_mov_b32 v2, v31 :: v_dual_mov_b32 v3, v31
	s_delay_alu instid0(VALU_DEP_3) | instskip(NEXT) | instid1(VALU_DEP_4)
	v_readfirstlane_b32 s6, v8
	v_readfirstlane_b32 s7, v9
	s_clause 0x3
	global_store_b128 v30, v[0:3], s[6:7]
	global_store_b128 v30, v[12:15], s[6:7] offset:16
	global_store_b128 v30, v[12:15], s[6:7] offset:32
	;; [unrolled: 1-line block ×3, first 2 shown]
	s_wait_xcnt 0x0
	s_and_saveexec_b32 s1, s0
	s_cbranch_execz .LBB1_238
; %bb.231:
	v_dual_mov_b32 v12, 0 :: v_dual_mov_b32 v15, s5
	s_mov_b32 s6, exec_lo
	s_clause 0x1
	global_load_b64 v[16:17], v12, s[2:3] offset:32 scope:SCOPE_SYS
	global_load_b64 v[0:1], v12, s[2:3] offset:40
	s_wait_loadcnt 0x0
	v_dual_mov_b32 v14, s4 :: v_dual_bitop2_b32 v1, s5, v1 bitop3:0x40
	v_and_b32_e32 v0, s4, v0
	s_delay_alu instid0(VALU_DEP_1) | instskip(NEXT) | instid1(VALU_DEP_1)
	v_mul_u64_e32 v[0:1], 24, v[0:1]
	v_add_nc_u64_e32 v[6:7], v[6:7], v[0:1]
	global_store_b64 v[6:7], v[16:17], off
	global_wb scope:SCOPE_SYS
	s_wait_storecnt 0x0
	s_wait_xcnt 0x0
	global_atomic_cmpswap_b64 v[2:3], v12, v[14:17], s[2:3] offset:32 th:TH_ATOMIC_RETURN scope:SCOPE_SYS
	s_wait_loadcnt 0x0
	v_cmpx_ne_u64_e64 v[2:3], v[16:17]
	s_cbranch_execz .LBB1_234
; %bb.232:
	s_mov_b32 s7, 0
.LBB1_233:                              ; =>This Inner Loop Header: Depth=1
	v_dual_mov_b32 v0, s4 :: v_dual_mov_b32 v1, s5
	s_sleep 1
	global_store_b64 v[6:7], v[2:3], off
	global_wb scope:SCOPE_SYS
	s_wait_storecnt 0x0
	s_wait_xcnt 0x0
	global_atomic_cmpswap_b64 v[0:1], v12, v[0:3], s[2:3] offset:32 th:TH_ATOMIC_RETURN scope:SCOPE_SYS
	s_wait_loadcnt 0x0
	v_cmp_eq_u64_e32 vcc_lo, v[0:1], v[2:3]
	v_mov_b64_e32 v[2:3], v[0:1]
	s_or_b32 s7, vcc_lo, s7
	s_delay_alu instid0(SALU_CYCLE_1)
	s_and_not1_b32 exec_lo, exec_lo, s7
	s_cbranch_execnz .LBB1_233
.LBB1_234:
	s_or_b32 exec_lo, exec_lo, s6
	v_mov_b32_e32 v3, 0
	s_mov_b32 s7, exec_lo
	s_mov_b32 s6, exec_lo
	v_mbcnt_lo_u32_b32 v2, s7, 0
	global_load_b64 v[0:1], v3, s[2:3] offset:16
	s_wait_xcnt 0x0
	v_cmpx_eq_u32_e32 0, v2
	s_cbranch_execz .LBB1_236
; %bb.235:
	s_bcnt1_i32_b32 s7, s7
	s_delay_alu instid0(SALU_CYCLE_1)
	v_mov_b32_e32 v2, s7
	global_wb scope:SCOPE_SYS
	s_wait_loadcnt 0x0
	s_wait_storecnt 0x0
	global_atomic_add_u64 v[0:1], v[2:3], off offset:8 scope:SCOPE_SYS
.LBB1_236:
	s_wait_xcnt 0x0
	s_or_b32 exec_lo, exec_lo, s6
	s_wait_loadcnt 0x0
	global_load_b64 v[2:3], v[0:1], off offset:16
	s_wait_loadcnt 0x0
	v_cmp_eq_u64_e32 vcc_lo, 0, v[2:3]
	s_cbranch_vccnz .LBB1_238
; %bb.237:
	global_load_b32 v0, v[0:1], off offset:24
	s_wait_xcnt 0x0
	v_mov_b32_e32 v1, 0
	s_wait_loadcnt 0x0
	v_readfirstlane_b32 s6, v0
	global_wb scope:SCOPE_SYS
	s_wait_storecnt 0x0
	global_store_b64 v[2:3], v[0:1], off scope:SCOPE_SYS
	s_and_b32 m0, s6, 0xffffff
	s_sendmsg sendmsg(MSG_INTERRUPT)
.LBB1_238:
	s_wait_xcnt 0x0
	s_or_b32 exec_lo, exec_lo, s1
	v_add_nc_u64_e32 v[0:1], v[8:9], v[30:31]
	s_branch .LBB1_242
.LBB1_239:                              ;   in Loop: Header=BB1_242 Depth=1
	s_wait_xcnt 0x0
	s_or_b32 exec_lo, exec_lo, s1
	s_delay_alu instid0(VALU_DEP_1)
	v_readfirstlane_b32 s1, v2
	s_cmp_eq_u32 s1, 0
	s_cbranch_scc1 .LBB1_241
; %bb.240:                              ;   in Loop: Header=BB1_242 Depth=1
	s_sleep 1
	s_cbranch_execnz .LBB1_242
	s_branch .LBB1_244
.LBB1_241:
	s_branch .LBB1_244
.LBB1_242:                              ; =>This Inner Loop Header: Depth=1
	v_mov_b32_e32 v2, 1
	s_and_saveexec_b32 s1, s0
	s_cbranch_execz .LBB1_239
; %bb.243:                              ;   in Loop: Header=BB1_242 Depth=1
	global_load_b32 v2, v[10:11], off offset:20 scope:SCOPE_SYS
	s_wait_loadcnt 0x0
	global_inv scope:SCOPE_SYS
	v_and_b32_e32 v2, 1, v2
	s_branch .LBB1_239
.LBB1_244:
	global_load_b64 v[6:7], v[0:1], off
	s_wait_xcnt 0x0
	s_and_saveexec_b32 s6, s0
	s_cbranch_execz .LBB1_248
; %bb.245:
	v_mov_b32_e32 v10, 0
	s_clause 0x2
	global_load_b64 v[0:1], v10, s[2:3] offset:40
	global_load_b64 v[14:15], v10, s[2:3] offset:24 scope:SCOPE_SYS
	global_load_b64 v[2:3], v10, s[2:3]
	s_wait_loadcnt 0x2
	v_readfirstlane_b32 s10, v0
	v_readfirstlane_b32 s11, v1
	s_add_nc_u64 s[0:1], s[10:11], 1
	s_delay_alu instid0(SALU_CYCLE_1) | instskip(NEXT) | instid1(SALU_CYCLE_1)
	s_add_nc_u64 s[4:5], s[0:1], s[4:5]
	s_cmp_eq_u64 s[4:5], 0
	s_cselect_b32 s1, s1, s5
	s_cselect_b32 s0, s0, s4
	v_mov_b32_e32 v13, s1
	s_and_b64 s[4:5], s[0:1], s[10:11]
	v_mov_b32_e32 v12, s0
	s_mul_u64 s[4:5], s[4:5], 24
	s_wait_loadcnt 0x0
	v_add_nc_u64_e32 v[8:9], s[4:5], v[2:3]
	global_store_b64 v[8:9], v[14:15], off
	global_wb scope:SCOPE_SYS
	s_wait_storecnt 0x0
	s_wait_xcnt 0x0
	global_atomic_cmpswap_b64 v[2:3], v10, v[12:15], s[2:3] offset:24 th:TH_ATOMIC_RETURN scope:SCOPE_SYS
	s_wait_loadcnt 0x0
	v_cmp_ne_u64_e32 vcc_lo, v[2:3], v[14:15]
	s_and_b32 exec_lo, exec_lo, vcc_lo
	s_cbranch_execz .LBB1_248
; %bb.246:
	s_mov_b32 s4, 0
.LBB1_247:                              ; =>This Inner Loop Header: Depth=1
	v_dual_mov_b32 v0, s0 :: v_dual_mov_b32 v1, s1
	s_sleep 1
	global_store_b64 v[8:9], v[2:3], off
	global_wb scope:SCOPE_SYS
	s_wait_storecnt 0x0
	s_wait_xcnt 0x0
	global_atomic_cmpswap_b64 v[0:1], v10, v[0:3], s[2:3] offset:24 th:TH_ATOMIC_RETURN scope:SCOPE_SYS
	s_wait_loadcnt 0x0
	v_cmp_eq_u64_e32 vcc_lo, v[0:1], v[2:3]
	v_mov_b64_e32 v[2:3], v[0:1]
	s_or_b32 s4, vcc_lo, s4
	s_delay_alu instid0(SALU_CYCLE_1)
	s_and_not1_b32 exec_lo, exec_lo, s4
	s_cbranch_execnz .LBB1_247
.LBB1_248:
	s_or_b32 exec_lo, exec_lo, s6
.LBB1_249:
	v_readfirstlane_b32 s0, v48
	v_mov_b64_e32 v[8:9], 0
	s_delay_alu instid0(VALU_DEP_2)
	v_cmp_eq_u32_e64 s0, s0, v48
	s_and_saveexec_b32 s1, s0
	s_cbranch_execz .LBB1_255
; %bb.250:
	s_wait_loadcnt 0x0
	v_mov_b32_e32 v0, 0
	s_mov_b32 s4, exec_lo
	global_load_b64 v[10:11], v0, s[2:3] offset:24 scope:SCOPE_SYS
	s_wait_loadcnt 0x0
	global_inv scope:SCOPE_SYS
	s_clause 0x1
	global_load_b64 v[2:3], v0, s[2:3] offset:40
	global_load_b64 v[8:9], v0, s[2:3]
	s_wait_loadcnt 0x1
	v_and_b32_e32 v2, v2, v10
	v_and_b32_e32 v3, v3, v11
	s_delay_alu instid0(VALU_DEP_1) | instskip(SKIP_1) | instid1(VALU_DEP_1)
	v_mul_u64_e32 v[2:3], 24, v[2:3]
	s_wait_loadcnt 0x0
	v_add_nc_u64_e32 v[2:3], v[8:9], v[2:3]
	global_load_b64 v[8:9], v[2:3], off scope:SCOPE_SYS
	s_wait_xcnt 0x0
	s_wait_loadcnt 0x0
	global_atomic_cmpswap_b64 v[8:9], v0, v[8:11], s[2:3] offset:24 th:TH_ATOMIC_RETURN scope:SCOPE_SYS
	s_wait_loadcnt 0x0
	global_inv scope:SCOPE_SYS
	s_wait_xcnt 0x0
	v_cmpx_ne_u64_e64 v[8:9], v[10:11]
	s_cbranch_execz .LBB1_254
; %bb.251:
	s_mov_b32 s5, 0
.LBB1_252:                              ; =>This Inner Loop Header: Depth=1
	s_sleep 1
	s_clause 0x1
	global_load_b64 v[2:3], v0, s[2:3] offset:40
	global_load_b64 v[12:13], v0, s[2:3]
	v_mov_b64_e32 v[10:11], v[8:9]
	s_wait_loadcnt 0x1
	s_delay_alu instid0(VALU_DEP_1) | instskip(SKIP_1) | instid1(VALU_DEP_1)
	v_and_b32_e32 v1, v2, v10
	s_wait_loadcnt 0x0
	v_mad_nc_u64_u32 v[8:9], v1, 24, v[12:13]
	s_delay_alu instid0(VALU_DEP_3) | instskip(NEXT) | instid1(VALU_DEP_1)
	v_and_b32_e32 v1, v3, v11
	v_mad_u32 v9, v1, 24, v9
	global_load_b64 v[8:9], v[8:9], off scope:SCOPE_SYS
	s_wait_xcnt 0x0
	s_wait_loadcnt 0x0
	global_atomic_cmpswap_b64 v[8:9], v0, v[8:11], s[2:3] offset:24 th:TH_ATOMIC_RETURN scope:SCOPE_SYS
	s_wait_loadcnt 0x0
	global_inv scope:SCOPE_SYS
	v_cmp_eq_u64_e32 vcc_lo, v[8:9], v[10:11]
	s_or_b32 s5, vcc_lo, s5
	s_wait_xcnt 0x0
	s_and_not1_b32 exec_lo, exec_lo, s5
	s_cbranch_execnz .LBB1_252
; %bb.253:
	s_or_b32 exec_lo, exec_lo, s5
.LBB1_254:
	s_delay_alu instid0(SALU_CYCLE_1)
	s_or_b32 exec_lo, exec_lo, s4
.LBB1_255:
	s_delay_alu instid0(SALU_CYCLE_1)
	s_or_b32 exec_lo, exec_lo, s1
	v_readfirstlane_b32 s4, v8
	v_mov_b32_e32 v31, 0
	v_readfirstlane_b32 s5, v9
	s_mov_b32 s1, exec_lo
	global_load_b64 v[10:11], v31, s[2:3] offset:40
	s_wait_loadcnt 0x1
	global_load_b128 v[0:3], v31, s[2:3]
	s_wait_loadcnt 0x1
	v_and_b32_e32 v8, s4, v10
	v_and_b32_e32 v9, s5, v11
	s_delay_alu instid0(VALU_DEP_1) | instskip(SKIP_1) | instid1(VALU_DEP_1)
	v_mul_u64_e32 v[10:11], 24, v[8:9]
	s_wait_loadcnt 0x0
	v_add_nc_u64_e32 v[10:11], v[0:1], v[10:11]
	s_wait_xcnt 0x0
	s_and_saveexec_b32 s6, s0
	s_cbranch_execz .LBB1_257
; %bb.256:
	v_mov_b64_e32 v[14:15], 0x100000002
	v_dual_mov_b32 v12, s1 :: v_dual_mov_b32 v13, v31
	global_store_b128 v[10:11], v[12:15], off offset:8
.LBB1_257:
	s_wait_xcnt 0x0
	s_or_b32 exec_lo, exec_lo, s6
	v_lshlrev_b64_e32 v[8:9], 12, v[8:9]
	s_mov_b32 s12, 0
	v_and_or_b32 v6, 0xffffff1f, v6, 32
	s_mov_b32 s14, s12
	s_mov_b32 s15, s12
	s_mov_b32 s13, s12
	v_mov_b64_e32 v[16:17], s[14:15]
	v_add_nc_u64_e32 v[12:13], v[2:3], v[8:9]
	v_mov_b64_e32 v[14:15], s[12:13]
	v_dual_mov_b32 v8, 0x331 :: v_dual_mov_b32 v9, v31
	s_delay_alu instid0(VALU_DEP_3) | instskip(NEXT) | instid1(VALU_DEP_4)
	v_readfirstlane_b32 s6, v12
	v_readfirstlane_b32 s7, v13
	s_clause 0x3
	global_store_b128 v30, v[6:9], s[6:7]
	global_store_b128 v30, v[14:17], s[6:7] offset:16
	global_store_b128 v30, v[14:17], s[6:7] offset:32
	;; [unrolled: 1-line block ×3, first 2 shown]
	s_wait_xcnt 0x0
	s_and_saveexec_b32 s1, s0
	s_cbranch_execz .LBB1_265
; %bb.258:
	v_dual_mov_b32 v8, 0 :: v_dual_mov_b32 v15, s5
	s_mov_b32 s6, exec_lo
	s_clause 0x1
	global_load_b64 v[16:17], v8, s[2:3] offset:32 scope:SCOPE_SYS
	global_load_b64 v[2:3], v8, s[2:3] offset:40
	s_wait_loadcnt 0x0
	v_dual_mov_b32 v14, s4 :: v_dual_bitop2_b32 v3, s5, v3 bitop3:0x40
	v_and_b32_e32 v2, s4, v2
	s_delay_alu instid0(VALU_DEP_1) | instskip(NEXT) | instid1(VALU_DEP_1)
	v_mul_u64_e32 v[2:3], 24, v[2:3]
	v_add_nc_u64_e32 v[6:7], v[0:1], v[2:3]
	global_store_b64 v[6:7], v[16:17], off
	global_wb scope:SCOPE_SYS
	s_wait_storecnt 0x0
	s_wait_xcnt 0x0
	global_atomic_cmpswap_b64 v[2:3], v8, v[14:17], s[2:3] offset:32 th:TH_ATOMIC_RETURN scope:SCOPE_SYS
	s_wait_loadcnt 0x0
	v_cmpx_ne_u64_e64 v[2:3], v[16:17]
	s_cbranch_execz .LBB1_261
; %bb.259:
	s_mov_b32 s7, 0
.LBB1_260:                              ; =>This Inner Loop Header: Depth=1
	v_dual_mov_b32 v0, s4 :: v_dual_mov_b32 v1, s5
	s_sleep 1
	global_store_b64 v[6:7], v[2:3], off
	global_wb scope:SCOPE_SYS
	s_wait_storecnt 0x0
	s_wait_xcnt 0x0
	global_atomic_cmpswap_b64 v[0:1], v8, v[0:3], s[2:3] offset:32 th:TH_ATOMIC_RETURN scope:SCOPE_SYS
	s_wait_loadcnt 0x0
	v_cmp_eq_u64_e32 vcc_lo, v[0:1], v[2:3]
	v_mov_b64_e32 v[2:3], v[0:1]
	s_or_b32 s7, vcc_lo, s7
	s_delay_alu instid0(SALU_CYCLE_1)
	s_and_not1_b32 exec_lo, exec_lo, s7
	s_cbranch_execnz .LBB1_260
.LBB1_261:
	s_or_b32 exec_lo, exec_lo, s6
	v_mov_b32_e32 v3, 0
	s_mov_b32 s7, exec_lo
	s_mov_b32 s6, exec_lo
	v_mbcnt_lo_u32_b32 v2, s7, 0
	global_load_b64 v[0:1], v3, s[2:3] offset:16
	s_wait_xcnt 0x0
	v_cmpx_eq_u32_e32 0, v2
	s_cbranch_execz .LBB1_263
; %bb.262:
	s_bcnt1_i32_b32 s7, s7
	s_delay_alu instid0(SALU_CYCLE_1)
	v_mov_b32_e32 v2, s7
	global_wb scope:SCOPE_SYS
	s_wait_loadcnt 0x0
	s_wait_storecnt 0x0
	global_atomic_add_u64 v[0:1], v[2:3], off offset:8 scope:SCOPE_SYS
.LBB1_263:
	s_wait_xcnt 0x0
	s_or_b32 exec_lo, exec_lo, s6
	s_wait_loadcnt 0x0
	global_load_b64 v[2:3], v[0:1], off offset:16
	s_wait_loadcnt 0x0
	v_cmp_eq_u64_e32 vcc_lo, 0, v[2:3]
	s_cbranch_vccnz .LBB1_265
; %bb.264:
	global_load_b32 v0, v[0:1], off offset:24
	s_wait_xcnt 0x0
	v_mov_b32_e32 v1, 0
	s_wait_loadcnt 0x0
	v_readfirstlane_b32 s6, v0
	global_wb scope:SCOPE_SYS
	s_wait_storecnt 0x0
	global_store_b64 v[2:3], v[0:1], off scope:SCOPE_SYS
	s_and_b32 m0, s6, 0xffffff
	s_sendmsg sendmsg(MSG_INTERRUPT)
.LBB1_265:
	s_wait_xcnt 0x0
	s_or_b32 exec_lo, exec_lo, s1
	v_add_nc_u64_e32 v[0:1], v[12:13], v[30:31]
	s_branch .LBB1_269
.LBB1_266:                              ;   in Loop: Header=BB1_269 Depth=1
	s_wait_xcnt 0x0
	s_or_b32 exec_lo, exec_lo, s1
	s_delay_alu instid0(VALU_DEP_1)
	v_readfirstlane_b32 s1, v2
	s_cmp_eq_u32 s1, 0
	s_cbranch_scc1 .LBB1_268
; %bb.267:                              ;   in Loop: Header=BB1_269 Depth=1
	s_sleep 1
	s_cbranch_execnz .LBB1_269
	s_branch .LBB1_271
.LBB1_268:
	s_branch .LBB1_271
.LBB1_269:                              ; =>This Inner Loop Header: Depth=1
	v_mov_b32_e32 v2, 1
	s_and_saveexec_b32 s1, s0
	s_cbranch_execz .LBB1_266
; %bb.270:                              ;   in Loop: Header=BB1_269 Depth=1
	global_load_b32 v2, v[10:11], off offset:20 scope:SCOPE_SYS
	s_wait_loadcnt 0x0
	global_inv scope:SCOPE_SYS
	v_and_b32_e32 v2, 1, v2
	s_branch .LBB1_266
.LBB1_271:
	global_load_b64 v[0:1], v[0:1], off
	s_wait_xcnt 0x0
	s_and_saveexec_b32 s6, s0
	s_cbranch_execz .LBB1_275
; %bb.272:
	v_mov_b32_e32 v10, 0
	s_clause 0x2
	global_load_b64 v[2:3], v10, s[2:3] offset:40
	global_load_b64 v[14:15], v10, s[2:3] offset:24 scope:SCOPE_SYS
	global_load_b64 v[6:7], v10, s[2:3]
	s_wait_loadcnt 0x2
	v_readfirstlane_b32 s10, v2
	v_readfirstlane_b32 s11, v3
	s_add_nc_u64 s[0:1], s[10:11], 1
	s_delay_alu instid0(SALU_CYCLE_1) | instskip(NEXT) | instid1(SALU_CYCLE_1)
	s_add_nc_u64 s[4:5], s[0:1], s[4:5]
	s_cmp_eq_u64 s[4:5], 0
	s_cselect_b32 s1, s1, s5
	s_cselect_b32 s0, s0, s4
	v_mov_b32_e32 v13, s1
	s_and_b64 s[4:5], s[0:1], s[10:11]
	v_mov_b32_e32 v12, s0
	s_mul_u64 s[4:5], s[4:5], 24
	s_wait_loadcnt 0x0
	v_add_nc_u64_e32 v[2:3], s[4:5], v[6:7]
	global_store_b64 v[2:3], v[14:15], off
	global_wb scope:SCOPE_SYS
	s_wait_storecnt 0x0
	s_wait_xcnt 0x0
	global_atomic_cmpswap_b64 v[8:9], v10, v[12:15], s[2:3] offset:24 th:TH_ATOMIC_RETURN scope:SCOPE_SYS
	s_wait_loadcnt 0x0
	v_cmp_ne_u64_e32 vcc_lo, v[8:9], v[14:15]
	s_and_b32 exec_lo, exec_lo, vcc_lo
	s_cbranch_execz .LBB1_275
; %bb.273:
	s_mov_b32 s4, 0
.LBB1_274:                              ; =>This Inner Loop Header: Depth=1
	v_dual_mov_b32 v6, s0 :: v_dual_mov_b32 v7, s1
	s_sleep 1
	global_store_b64 v[2:3], v[8:9], off
	global_wb scope:SCOPE_SYS
	s_wait_storecnt 0x0
	s_wait_xcnt 0x0
	global_atomic_cmpswap_b64 v[6:7], v10, v[6:9], s[2:3] offset:24 th:TH_ATOMIC_RETURN scope:SCOPE_SYS
	s_wait_loadcnt 0x0
	v_cmp_eq_u64_e32 vcc_lo, v[6:7], v[8:9]
	v_mov_b64_e32 v[8:9], v[6:7]
	s_or_b32 s4, vcc_lo, s4
	s_delay_alu instid0(SALU_CYCLE_1)
	s_and_not1_b32 exec_lo, exec_lo, s4
	s_cbranch_execnz .LBB1_274
.LBB1_275:
	s_or_b32 exec_lo, exec_lo, s6
	v_mov_b64_e32 v[2:3], v[4:5]
	s_mov_b32 s0, 0
.LBB1_276:                              ; =>This Inner Loop Header: Depth=1
	global_load_u8 v6, v[2:3], off
	s_wait_xcnt 0x0
	v_add_nc_u64_e32 v[2:3], 1, v[2:3]
	s_wait_loadcnt 0x0
	v_cmp_eq_u16_e32 vcc_lo, 0, v6
	s_or_b32 s0, vcc_lo, s0
	s_delay_alu instid0(SALU_CYCLE_1)
	s_and_not1_b32 exec_lo, exec_lo, s0
	s_cbranch_execnz .LBB1_276
; %bb.277:
	s_or_b32 exec_lo, exec_lo, s0
	s_delay_alu instid0(SALU_CYCLE_1)
	s_mov_b32 s0, exec_lo
	v_cmpx_ne_u64_e32 0, v[4:5]
	s_xor_b32 s6, exec_lo, s0
	s_cbranch_execz .LBB1_363
; %bb.278:
	v_dual_mov_b32 v31, 0 :: v_dual_sub_nc_u32 v26, v2, v4
	v_mov_b64_e32 v[8:9], 0x100000002
	v_and_b32_e32 v28, 2, v0
	s_delay_alu instid0(VALU_DEP_3)
	v_dual_ashrrev_i32 v27, 31, v26 :: v_dual_bitop2_b32 v0, -3, v0 bitop3:0x40
	s_mov_b32 s10, 0
	s_mov_b32 s7, 0
	s_branch .LBB1_280
.LBB1_279:                              ;   in Loop: Header=BB1_280 Depth=1
	s_or_b32 exec_lo, exec_lo, s11
	v_sub_nc_u64_e32 v[26:27], v[26:27], v[32:33]
	v_add_nc_u64_e32 v[4:5], v[4:5], v[32:33]
	s_delay_alu instid0(VALU_DEP_2) | instskip(SKIP_1) | instid1(SALU_CYCLE_1)
	v_cmp_eq_u64_e32 vcc_lo, 0, v[26:27]
	s_or_b32 s7, vcc_lo, s7
	s_and_not1_b32 exec_lo, exec_lo, s7
	s_cbranch_execz .LBB1_362
.LBB1_280:                              ; =>This Loop Header: Depth=1
                                        ;     Child Loop BB1_283 Depth 2
                                        ;     Child Loop BB1_291 Depth 2
	;; [unrolled: 1-line block ×11, first 2 shown]
	s_delay_alu instid0(VALU_DEP_1) | instskip(NEXT) | instid1(VALU_DEP_3)
	v_min_u64 v[32:33], v[26:27], 56
	v_add_nc_u64_e32 v[12:13], 8, v[4:5]
	s_mov_b32 s0, exec_lo
	v_cmpx_gt_u64_e32 8, v[26:27]
	s_xor_b32 s4, exec_lo, s0
	s_cbranch_execz .LBB1_286
; %bb.281:                              ;   in Loop: Header=BB1_280 Depth=1
	v_mov_b64_e32 v[2:3], 0
	s_mov_b32 s5, exec_lo
	v_cmpx_ne_u64_e32 0, v[26:27]
	s_cbranch_execz .LBB1_285
; %bb.282:                              ;   in Loop: Header=BB1_280 Depth=1
	v_mov_b64_e32 v[2:3], 0
	v_mov_b64_e32 v[10:11], v[4:5]
	v_lshlrev_b32_e32 v6, 3, v32
	s_mov_b64 s[0:1], 0
	s_mov_b32 s11, 0
.LBB1_283:                              ;   Parent Loop BB1_280 Depth=1
                                        ; =>  This Inner Loop Header: Depth=2
	global_load_u8 v7, v[10:11], off
	v_mov_b32_e32 v13, s10
	s_wait_xcnt 0x0
	v_add_nc_u64_e32 v[10:11], 1, v[10:11]
	s_wait_loadcnt 0x0
	v_and_b32_e32 v12, 0xffff, v7
	s_delay_alu instid0(VALU_DEP_1) | instskip(SKIP_1) | instid1(SALU_CYCLE_1)
	v_lshlrev_b64_e32 v[12:13], s0, v[12:13]
	s_add_nc_u64 s[0:1], s[0:1], 8
	v_cmp_eq_u32_e32 vcc_lo, s0, v6
	s_delay_alu instid0(VALU_DEP_2) | instskip(NEXT) | instid1(VALU_DEP_3)
	v_or_b32_e32 v3, v13, v3
	v_or_b32_e32 v2, v12, v2
	s_or_b32 s11, vcc_lo, s11
	s_delay_alu instid0(SALU_CYCLE_1)
	s_and_not1_b32 exec_lo, exec_lo, s11
	s_cbranch_execnz .LBB1_283
; %bb.284:                              ;   in Loop: Header=BB1_280 Depth=1
	s_or_b32 exec_lo, exec_lo, s11
.LBB1_285:                              ;   in Loop: Header=BB1_280 Depth=1
	s_delay_alu instid0(SALU_CYCLE_1)
	s_or_b32 exec_lo, exec_lo, s5
	v_mov_b64_e32 v[12:13], v[4:5]
.LBB1_286:                              ;   in Loop: Header=BB1_280 Depth=1
	s_or_saveexec_b32 s0, s4
	v_mov_b32_e32 v14, 0
	s_xor_b32 exec_lo, exec_lo, s0
	s_cbranch_execz .LBB1_288
; %bb.287:                              ;   in Loop: Header=BB1_280 Depth=1
	global_load_b64 v[2:3], v[4:5], off
	v_add_nc_u32_e32 v14, -8, v32
.LBB1_288:                              ;   in Loop: Header=BB1_280 Depth=1
	s_wait_xcnt 0x0
	s_or_b32 exec_lo, exec_lo, s0
	v_add_nc_u64_e32 v[6:7], 8, v[12:13]
                                        ; implicit-def: $vgpr10_vgpr11
	s_mov_b32 s0, exec_lo
	v_cmpx_gt_u32_e32 8, v14
	s_xor_b32 s11, exec_lo, s0
	s_cbranch_execz .LBB1_294
; %bb.289:                              ;   in Loop: Header=BB1_280 Depth=1
	v_mov_b64_e32 v[10:11], 0
	s_mov_b32 s12, exec_lo
	v_cmpx_ne_u32_e32 0, v14
	s_cbranch_execz .LBB1_293
; %bb.290:                              ;   in Loop: Header=BB1_280 Depth=1
	v_mov_b64_e32 v[10:11], 0
	s_mov_b64 s[0:1], 0
	s_mov_b32 s13, 0
	s_mov_b64 s[4:5], 0
.LBB1_291:                              ;   Parent Loop BB1_280 Depth=1
                                        ; =>  This Inner Loop Header: Depth=2
	s_delay_alu instid0(SALU_CYCLE_1) | instskip(SKIP_1) | instid1(SALU_CYCLE_1)
	v_add_nc_u64_e32 v[6:7], s[4:5], v[12:13]
	s_add_nc_u64 s[4:5], s[4:5], 1
	v_cmp_eq_u32_e32 vcc_lo, s4, v14
	global_load_u8 v6, v[6:7], off
	s_wait_xcnt 0x0
	v_mov_b32_e32 v7, s10
	s_or_b32 s13, vcc_lo, s13
	s_wait_loadcnt 0x0
	v_and_b32_e32 v6, 0xffff, v6
	s_delay_alu instid0(VALU_DEP_1) | instskip(SKIP_1) | instid1(VALU_DEP_1)
	v_lshlrev_b64_e32 v[6:7], s0, v[6:7]
	s_add_nc_u64 s[0:1], s[0:1], 8
	v_or_b32_e32 v11, v7, v11
	s_delay_alu instid0(VALU_DEP_2)
	v_or_b32_e32 v10, v6, v10
	s_and_not1_b32 exec_lo, exec_lo, s13
	s_cbranch_execnz .LBB1_291
; %bb.292:                              ;   in Loop: Header=BB1_280 Depth=1
	s_or_b32 exec_lo, exec_lo, s13
.LBB1_293:                              ;   in Loop: Header=BB1_280 Depth=1
	s_delay_alu instid0(SALU_CYCLE_1)
	s_or_b32 exec_lo, exec_lo, s12
	v_mov_b64_e32 v[6:7], v[12:13]
                                        ; implicit-def: $vgpr14
.LBB1_294:                              ;   in Loop: Header=BB1_280 Depth=1
	s_or_saveexec_b32 s0, s11
	v_mov_b32_e32 v15, 0
	s_xor_b32 exec_lo, exec_lo, s0
	s_cbranch_execz .LBB1_296
; %bb.295:                              ;   in Loop: Header=BB1_280 Depth=1
	global_load_b64 v[10:11], v[12:13], off
	v_add_nc_u32_e32 v15, -8, v14
.LBB1_296:                              ;   in Loop: Header=BB1_280 Depth=1
	s_wait_xcnt 0x0
	s_or_b32 exec_lo, exec_lo, s0
	v_add_nc_u64_e32 v[16:17], 8, v[6:7]
	s_mov_b32 s0, exec_lo
	v_cmpx_gt_u32_e32 8, v15
	s_xor_b32 s11, exec_lo, s0
	s_cbranch_execz .LBB1_302
; %bb.297:                              ;   in Loop: Header=BB1_280 Depth=1
	v_mov_b64_e32 v[12:13], 0
	s_mov_b32 s12, exec_lo
	v_cmpx_ne_u32_e32 0, v15
	s_cbranch_execz .LBB1_301
; %bb.298:                              ;   in Loop: Header=BB1_280 Depth=1
	v_mov_b64_e32 v[12:13], 0
	s_mov_b64 s[0:1], 0
	s_mov_b32 s13, 0
	s_mov_b64 s[4:5], 0
.LBB1_299:                              ;   Parent Loop BB1_280 Depth=1
                                        ; =>  This Inner Loop Header: Depth=2
	s_delay_alu instid0(SALU_CYCLE_1) | instskip(SKIP_1) | instid1(SALU_CYCLE_1)
	v_add_nc_u64_e32 v[16:17], s[4:5], v[6:7]
	s_add_nc_u64 s[4:5], s[4:5], 1
	v_cmp_eq_u32_e32 vcc_lo, s4, v15
	global_load_u8 v14, v[16:17], off
	s_wait_xcnt 0x0
	v_mov_b32_e32 v17, s10
	s_or_b32 s13, vcc_lo, s13
	s_wait_loadcnt 0x0
	v_and_b32_e32 v16, 0xffff, v14
	s_delay_alu instid0(VALU_DEP_1) | instskip(SKIP_1) | instid1(VALU_DEP_1)
	v_lshlrev_b64_e32 v[16:17], s0, v[16:17]
	s_add_nc_u64 s[0:1], s[0:1], 8
	v_or_b32_e32 v13, v17, v13
	s_delay_alu instid0(VALU_DEP_2)
	v_or_b32_e32 v12, v16, v12
	s_and_not1_b32 exec_lo, exec_lo, s13
	s_cbranch_execnz .LBB1_299
; %bb.300:                              ;   in Loop: Header=BB1_280 Depth=1
	s_or_b32 exec_lo, exec_lo, s13
.LBB1_301:                              ;   in Loop: Header=BB1_280 Depth=1
	s_delay_alu instid0(SALU_CYCLE_1)
	s_or_b32 exec_lo, exec_lo, s12
	v_mov_b64_e32 v[16:17], v[6:7]
                                        ; implicit-def: $vgpr15
.LBB1_302:                              ;   in Loop: Header=BB1_280 Depth=1
	s_or_saveexec_b32 s0, s11
	v_mov_b32_e32 v18, 0
	s_xor_b32 exec_lo, exec_lo, s0
	s_cbranch_execz .LBB1_304
; %bb.303:                              ;   in Loop: Header=BB1_280 Depth=1
	global_load_b64 v[12:13], v[6:7], off
	v_add_nc_u32_e32 v18, -8, v15
.LBB1_304:                              ;   in Loop: Header=BB1_280 Depth=1
	s_wait_xcnt 0x0
	s_or_b32 exec_lo, exec_lo, s0
	v_add_nc_u64_e32 v[6:7], 8, v[16:17]
                                        ; implicit-def: $vgpr14_vgpr15
	s_mov_b32 s0, exec_lo
	v_cmpx_gt_u32_e32 8, v18
	s_xor_b32 s11, exec_lo, s0
	s_cbranch_execz .LBB1_310
; %bb.305:                              ;   in Loop: Header=BB1_280 Depth=1
	v_mov_b64_e32 v[14:15], 0
	s_mov_b32 s12, exec_lo
	v_cmpx_ne_u32_e32 0, v18
	s_cbranch_execz .LBB1_309
; %bb.306:                              ;   in Loop: Header=BB1_280 Depth=1
	v_mov_b64_e32 v[14:15], 0
	s_mov_b64 s[0:1], 0
	s_mov_b32 s13, 0
	s_mov_b64 s[4:5], 0
.LBB1_307:                              ;   Parent Loop BB1_280 Depth=1
                                        ; =>  This Inner Loop Header: Depth=2
	s_delay_alu instid0(SALU_CYCLE_1) | instskip(SKIP_1) | instid1(SALU_CYCLE_1)
	v_add_nc_u64_e32 v[6:7], s[4:5], v[16:17]
	s_add_nc_u64 s[4:5], s[4:5], 1
	v_cmp_eq_u32_e32 vcc_lo, s4, v18
	global_load_u8 v6, v[6:7], off
	s_wait_xcnt 0x0
	v_mov_b32_e32 v7, s10
	s_or_b32 s13, vcc_lo, s13
	s_wait_loadcnt 0x0
	v_and_b32_e32 v6, 0xffff, v6
	s_delay_alu instid0(VALU_DEP_1) | instskip(SKIP_1) | instid1(VALU_DEP_1)
	v_lshlrev_b64_e32 v[6:7], s0, v[6:7]
	s_add_nc_u64 s[0:1], s[0:1], 8
	v_or_b32_e32 v15, v7, v15
	s_delay_alu instid0(VALU_DEP_2)
	v_or_b32_e32 v14, v6, v14
	s_and_not1_b32 exec_lo, exec_lo, s13
	s_cbranch_execnz .LBB1_307
; %bb.308:                              ;   in Loop: Header=BB1_280 Depth=1
	s_or_b32 exec_lo, exec_lo, s13
.LBB1_309:                              ;   in Loop: Header=BB1_280 Depth=1
	s_delay_alu instid0(SALU_CYCLE_1)
	s_or_b32 exec_lo, exec_lo, s12
	v_mov_b64_e32 v[6:7], v[16:17]
                                        ; implicit-def: $vgpr18
.LBB1_310:                              ;   in Loop: Header=BB1_280 Depth=1
	s_or_saveexec_b32 s0, s11
	v_mov_b32_e32 v19, 0
	s_xor_b32 exec_lo, exec_lo, s0
	s_cbranch_execz .LBB1_312
; %bb.311:                              ;   in Loop: Header=BB1_280 Depth=1
	global_load_b64 v[14:15], v[16:17], off
	v_add_nc_u32_e32 v19, -8, v18
.LBB1_312:                              ;   in Loop: Header=BB1_280 Depth=1
	s_wait_xcnt 0x0
	s_or_b32 exec_lo, exec_lo, s0
	v_add_nc_u64_e32 v[20:21], 8, v[6:7]
	s_mov_b32 s0, exec_lo
	v_cmpx_gt_u32_e32 8, v19
	s_xor_b32 s11, exec_lo, s0
	s_cbranch_execz .LBB1_318
; %bb.313:                              ;   in Loop: Header=BB1_280 Depth=1
	v_mov_b64_e32 v[16:17], 0
	s_mov_b32 s12, exec_lo
	v_cmpx_ne_u32_e32 0, v19
	s_cbranch_execz .LBB1_317
; %bb.314:                              ;   in Loop: Header=BB1_280 Depth=1
	v_mov_b64_e32 v[16:17], 0
	s_mov_b64 s[0:1], 0
	s_mov_b32 s13, 0
	s_mov_b64 s[4:5], 0
.LBB1_315:                              ;   Parent Loop BB1_280 Depth=1
                                        ; =>  This Inner Loop Header: Depth=2
	s_delay_alu instid0(SALU_CYCLE_1) | instskip(SKIP_1) | instid1(SALU_CYCLE_1)
	v_add_nc_u64_e32 v[20:21], s[4:5], v[6:7]
	s_add_nc_u64 s[4:5], s[4:5], 1
	v_cmp_eq_u32_e32 vcc_lo, s4, v19
	global_load_u8 v18, v[20:21], off
	s_wait_xcnt 0x0
	v_mov_b32_e32 v21, s10
	s_or_b32 s13, vcc_lo, s13
	s_wait_loadcnt 0x0
	v_and_b32_e32 v20, 0xffff, v18
	s_delay_alu instid0(VALU_DEP_1) | instskip(SKIP_1) | instid1(VALU_DEP_1)
	v_lshlrev_b64_e32 v[20:21], s0, v[20:21]
	s_add_nc_u64 s[0:1], s[0:1], 8
	v_or_b32_e32 v17, v21, v17
	s_delay_alu instid0(VALU_DEP_2)
	v_or_b32_e32 v16, v20, v16
	s_and_not1_b32 exec_lo, exec_lo, s13
	s_cbranch_execnz .LBB1_315
; %bb.316:                              ;   in Loop: Header=BB1_280 Depth=1
	s_or_b32 exec_lo, exec_lo, s13
.LBB1_317:                              ;   in Loop: Header=BB1_280 Depth=1
	s_delay_alu instid0(SALU_CYCLE_1)
	s_or_b32 exec_lo, exec_lo, s12
	v_mov_b64_e32 v[20:21], v[6:7]
                                        ; implicit-def: $vgpr19
.LBB1_318:                              ;   in Loop: Header=BB1_280 Depth=1
	s_or_saveexec_b32 s0, s11
	v_mov_b32_e32 v22, 0
	s_xor_b32 exec_lo, exec_lo, s0
	s_cbranch_execz .LBB1_320
; %bb.319:                              ;   in Loop: Header=BB1_280 Depth=1
	global_load_b64 v[16:17], v[6:7], off
	v_add_nc_u32_e32 v22, -8, v19
.LBB1_320:                              ;   in Loop: Header=BB1_280 Depth=1
	s_wait_xcnt 0x0
	s_or_b32 exec_lo, exec_lo, s0
	v_add_nc_u64_e32 v[6:7], 8, v[20:21]
                                        ; implicit-def: $vgpr18_vgpr19
	s_mov_b32 s0, exec_lo
	v_cmpx_gt_u32_e32 8, v22
	s_xor_b32 s11, exec_lo, s0
	s_cbranch_execz .LBB1_326
; %bb.321:                              ;   in Loop: Header=BB1_280 Depth=1
	v_mov_b64_e32 v[18:19], 0
	s_mov_b32 s12, exec_lo
	v_cmpx_ne_u32_e32 0, v22
	s_cbranch_execz .LBB1_325
; %bb.322:                              ;   in Loop: Header=BB1_280 Depth=1
	v_mov_b64_e32 v[18:19], 0
	s_mov_b64 s[0:1], 0
	s_mov_b32 s13, 0
	s_mov_b64 s[4:5], 0
.LBB1_323:                              ;   Parent Loop BB1_280 Depth=1
                                        ; =>  This Inner Loop Header: Depth=2
	s_delay_alu instid0(SALU_CYCLE_1) | instskip(SKIP_1) | instid1(SALU_CYCLE_1)
	v_add_nc_u64_e32 v[6:7], s[4:5], v[20:21]
	s_add_nc_u64 s[4:5], s[4:5], 1
	v_cmp_eq_u32_e32 vcc_lo, s4, v22
	global_load_u8 v6, v[6:7], off
	s_wait_xcnt 0x0
	v_mov_b32_e32 v7, s10
	s_or_b32 s13, vcc_lo, s13
	s_wait_loadcnt 0x0
	v_and_b32_e32 v6, 0xffff, v6
	s_delay_alu instid0(VALU_DEP_1) | instskip(SKIP_1) | instid1(VALU_DEP_1)
	v_lshlrev_b64_e32 v[6:7], s0, v[6:7]
	s_add_nc_u64 s[0:1], s[0:1], 8
	v_or_b32_e32 v19, v7, v19
	s_delay_alu instid0(VALU_DEP_2)
	v_or_b32_e32 v18, v6, v18
	s_and_not1_b32 exec_lo, exec_lo, s13
	s_cbranch_execnz .LBB1_323
; %bb.324:                              ;   in Loop: Header=BB1_280 Depth=1
	s_or_b32 exec_lo, exec_lo, s13
.LBB1_325:                              ;   in Loop: Header=BB1_280 Depth=1
	s_delay_alu instid0(SALU_CYCLE_1)
	s_or_b32 exec_lo, exec_lo, s12
	v_mov_b64_e32 v[6:7], v[20:21]
                                        ; implicit-def: $vgpr22
.LBB1_326:                              ;   in Loop: Header=BB1_280 Depth=1
	s_or_saveexec_b32 s0, s11
	v_mov_b32_e32 v23, 0
	s_xor_b32 exec_lo, exec_lo, s0
	s_cbranch_execz .LBB1_328
; %bb.327:                              ;   in Loop: Header=BB1_280 Depth=1
	global_load_b64 v[18:19], v[20:21], off
	v_add_nc_u32_e32 v23, -8, v22
.LBB1_328:                              ;   in Loop: Header=BB1_280 Depth=1
	s_wait_xcnt 0x0
	s_or_b32 exec_lo, exec_lo, s0
	s_delay_alu instid0(SALU_CYCLE_1) | instskip(NEXT) | instid1(VALU_DEP_1)
	s_mov_b32 s0, exec_lo
	v_cmpx_gt_u32_e32 8, v23
	s_xor_b32 s4, exec_lo, s0
	s_cbranch_execz .LBB1_334
; %bb.329:                              ;   in Loop: Header=BB1_280 Depth=1
	v_mov_b64_e32 v[20:21], 0
	s_mov_b32 s5, exec_lo
	v_cmpx_ne_u32_e32 0, v23
	s_cbranch_execz .LBB1_333
; %bb.330:                              ;   in Loop: Header=BB1_280 Depth=1
	v_mov_b64_e32 v[20:21], 0
	s_mov_b64 s[0:1], 0
	s_mov_b32 s11, 0
.LBB1_331:                              ;   Parent Loop BB1_280 Depth=1
                                        ; =>  This Inner Loop Header: Depth=2
	global_load_u8 v22, v[6:7], off
	v_dual_mov_b32 v25, s10 :: v_dual_add_nc_u32 v23, -1, v23
	s_wait_xcnt 0x0
	v_add_nc_u64_e32 v[6:7], 1, v[6:7]
	s_delay_alu instid0(VALU_DEP_2) | instskip(SKIP_3) | instid1(VALU_DEP_1)
	v_cmp_eq_u32_e32 vcc_lo, 0, v23
	s_or_b32 s11, vcc_lo, s11
	s_wait_loadcnt 0x0
	v_and_b32_e32 v24, 0xffff, v22
	v_lshlrev_b64_e32 v[24:25], s0, v[24:25]
	s_add_nc_u64 s[0:1], s[0:1], 8
	s_delay_alu instid0(VALU_DEP_1) | instskip(NEXT) | instid1(VALU_DEP_2)
	v_or_b32_e32 v21, v25, v21
	v_or_b32_e32 v20, v24, v20
	s_and_not1_b32 exec_lo, exec_lo, s11
	s_cbranch_execnz .LBB1_331
; %bb.332:                              ;   in Loop: Header=BB1_280 Depth=1
	s_or_b32 exec_lo, exec_lo, s11
.LBB1_333:                              ;   in Loop: Header=BB1_280 Depth=1
	s_delay_alu instid0(SALU_CYCLE_1)
	s_or_b32 exec_lo, exec_lo, s5
                                        ; implicit-def: $vgpr6_vgpr7
.LBB1_334:                              ;   in Loop: Header=BB1_280 Depth=1
	s_and_not1_saveexec_b32 s0, s4
	s_cbranch_execz .LBB1_336
; %bb.335:                              ;   in Loop: Header=BB1_280 Depth=1
	global_load_b64 v[20:21], v[6:7], off
.LBB1_336:                              ;   in Loop: Header=BB1_280 Depth=1
	s_wait_xcnt 0x0
	s_or_b32 exec_lo, exec_lo, s0
	v_readfirstlane_b32 s0, v48
	v_mov_b64_e32 v[6:7], 0
	s_delay_alu instid0(VALU_DEP_2)
	v_cmp_eq_u32_e64 s0, s0, v48
	s_and_saveexec_b32 s1, s0
	s_cbranch_execz .LBB1_342
; %bb.337:                              ;   in Loop: Header=BB1_280 Depth=1
	global_load_b64 v[24:25], v31, s[2:3] offset:24 scope:SCOPE_SYS
	s_wait_loadcnt 0x0
	global_inv scope:SCOPE_SYS
	s_clause 0x1
	global_load_b64 v[6:7], v31, s[2:3] offset:40
	global_load_b64 v[22:23], v31, s[2:3]
	s_mov_b32 s4, exec_lo
	s_wait_loadcnt 0x1
	v_and_b32_e32 v6, v6, v24
	v_and_b32_e32 v7, v7, v25
	s_delay_alu instid0(VALU_DEP_1) | instskip(SKIP_1) | instid1(VALU_DEP_1)
	v_mul_u64_e32 v[6:7], 24, v[6:7]
	s_wait_loadcnt 0x0
	v_add_nc_u64_e32 v[6:7], v[22:23], v[6:7]
	global_load_b64 v[22:23], v[6:7], off scope:SCOPE_SYS
	s_wait_xcnt 0x0
	s_wait_loadcnt 0x0
	global_atomic_cmpswap_b64 v[6:7], v31, v[22:25], s[2:3] offset:24 th:TH_ATOMIC_RETURN scope:SCOPE_SYS
	s_wait_loadcnt 0x0
	global_inv scope:SCOPE_SYS
	s_wait_xcnt 0x0
	v_cmpx_ne_u64_e64 v[6:7], v[24:25]
	s_cbranch_execz .LBB1_341
; %bb.338:                              ;   in Loop: Header=BB1_280 Depth=1
	s_mov_b32 s5, 0
.LBB1_339:                              ;   Parent Loop BB1_280 Depth=1
                                        ; =>  This Inner Loop Header: Depth=2
	s_sleep 1
	s_clause 0x1
	global_load_b64 v[22:23], v31, s[2:3] offset:40
	global_load_b64 v[34:35], v31, s[2:3]
	v_mov_b64_e32 v[24:25], v[6:7]
	s_wait_loadcnt 0x1
	s_delay_alu instid0(VALU_DEP_1) | instskip(NEXT) | instid1(VALU_DEP_2)
	v_and_b32_e32 v6, v22, v24
	v_and_b32_e32 v22, v23, v25
	s_wait_loadcnt 0x0
	s_delay_alu instid0(VALU_DEP_2) | instskip(NEXT) | instid1(VALU_DEP_1)
	v_mad_nc_u64_u32 v[6:7], v6, 24, v[34:35]
	v_mad_u32 v7, v22, 24, v7
	global_load_b64 v[22:23], v[6:7], off scope:SCOPE_SYS
	s_wait_xcnt 0x0
	s_wait_loadcnt 0x0
	global_atomic_cmpswap_b64 v[6:7], v31, v[22:25], s[2:3] offset:24 th:TH_ATOMIC_RETURN scope:SCOPE_SYS
	s_wait_loadcnt 0x0
	global_inv scope:SCOPE_SYS
	v_cmp_eq_u64_e32 vcc_lo, v[6:7], v[24:25]
	s_or_b32 s5, vcc_lo, s5
	s_wait_xcnt 0x0
	s_and_not1_b32 exec_lo, exec_lo, s5
	s_cbranch_execnz .LBB1_339
; %bb.340:                              ;   in Loop: Header=BB1_280 Depth=1
	s_or_b32 exec_lo, exec_lo, s5
.LBB1_341:                              ;   in Loop: Header=BB1_280 Depth=1
	s_delay_alu instid0(SALU_CYCLE_1)
	s_or_b32 exec_lo, exec_lo, s4
.LBB1_342:                              ;   in Loop: Header=BB1_280 Depth=1
	s_delay_alu instid0(SALU_CYCLE_1)
	s_or_b32 exec_lo, exec_lo, s1
	s_clause 0x1
	global_load_b64 v[34:35], v31, s[2:3] offset:40
	global_load_b128 v[22:25], v31, s[2:3]
	v_readfirstlane_b32 s4, v6
	v_readfirstlane_b32 s5, v7
	s_mov_b32 s1, exec_lo
	s_wait_loadcnt 0x1
	v_and_b32_e32 v36, s4, v34
	v_and_b32_e32 v37, s5, v35
	s_delay_alu instid0(VALU_DEP_1) | instskip(SKIP_1) | instid1(VALU_DEP_1)
	v_mul_u64_e32 v[6:7], 24, v[36:37]
	s_wait_loadcnt 0x0
	v_add_nc_u64_e32 v[34:35], v[22:23], v[6:7]
	s_wait_xcnt 0x0
	s_and_saveexec_b32 s11, s0
	s_cbranch_execz .LBB1_344
; %bb.343:                              ;   in Loop: Header=BB1_280 Depth=1
	v_dual_mov_b32 v6, s1 :: v_dual_mov_b32 v7, v31
	global_store_b128 v[34:35], v[6:9], off offset:8
.LBB1_344:                              ;   in Loop: Header=BB1_280 Depth=1
	s_wait_xcnt 0x0
	s_or_b32 exec_lo, exec_lo, s11
	v_cmp_gt_u64_e32 vcc_lo, 57, v[26:27]
	v_lshlrev_b64_e32 v[6:7], 12, v[36:37]
	v_and_b32_e32 v0, 0xffffff1f, v0
	v_lshl_add_u32 v36, v32, 2, 28
	v_cndmask_b32_e32 v29, 0, v28, vcc_lo
	s_delay_alu instid0(VALU_DEP_4) | instskip(NEXT) | instid1(VALU_DEP_2)
	v_add_nc_u64_e32 v[6:7], v[24:25], v[6:7]
	v_or_b32_e32 v0, v0, v29
	s_delay_alu instid0(VALU_DEP_2) | instskip(NEXT) | instid1(VALU_DEP_3)
	v_readfirstlane_b32 s12, v6
	v_readfirstlane_b32 s13, v7
	s_delay_alu instid0(VALU_DEP_3)
	v_and_or_b32 v0, 0x1e0, v36, v0
	s_clause 0x3
	global_store_b128 v30, v[0:3], s[12:13]
	global_store_b128 v30, v[10:13], s[12:13] offset:16
	global_store_b128 v30, v[14:17], s[12:13] offset:32
	;; [unrolled: 1-line block ×3, first 2 shown]
	s_wait_xcnt 0x0
	s_and_saveexec_b32 s1, s0
	s_cbranch_execz .LBB1_352
; %bb.345:                              ;   in Loop: Header=BB1_280 Depth=1
	s_clause 0x1
	global_load_b64 v[14:15], v31, s[2:3] offset:32 scope:SCOPE_SYS
	global_load_b64 v[0:1], v31, s[2:3] offset:40
	s_mov_b32 s11, exec_lo
	v_dual_mov_b32 v12, s4 :: v_dual_mov_b32 v13, s5
	s_wait_loadcnt 0x0
	v_and_b32_e32 v1, s5, v1
	v_and_b32_e32 v0, s4, v0
	s_delay_alu instid0(VALU_DEP_1) | instskip(NEXT) | instid1(VALU_DEP_1)
	v_mul_u64_e32 v[0:1], 24, v[0:1]
	v_add_nc_u64_e32 v[10:11], v[22:23], v[0:1]
	global_store_b64 v[10:11], v[14:15], off
	global_wb scope:SCOPE_SYS
	s_wait_storecnt 0x0
	s_wait_xcnt 0x0
	global_atomic_cmpswap_b64 v[2:3], v31, v[12:15], s[2:3] offset:32 th:TH_ATOMIC_RETURN scope:SCOPE_SYS
	s_wait_loadcnt 0x0
	v_cmpx_ne_u64_e64 v[2:3], v[14:15]
	s_cbranch_execz .LBB1_348
; %bb.346:                              ;   in Loop: Header=BB1_280 Depth=1
	s_mov_b32 s12, 0
.LBB1_347:                              ;   Parent Loop BB1_280 Depth=1
                                        ; =>  This Inner Loop Header: Depth=2
	v_dual_mov_b32 v0, s4 :: v_dual_mov_b32 v1, s5
	s_sleep 1
	global_store_b64 v[10:11], v[2:3], off
	global_wb scope:SCOPE_SYS
	s_wait_storecnt 0x0
	s_wait_xcnt 0x0
	global_atomic_cmpswap_b64 v[0:1], v31, v[0:3], s[2:3] offset:32 th:TH_ATOMIC_RETURN scope:SCOPE_SYS
	s_wait_loadcnt 0x0
	v_cmp_eq_u64_e32 vcc_lo, v[0:1], v[2:3]
	v_mov_b64_e32 v[2:3], v[0:1]
	s_or_b32 s12, vcc_lo, s12
	s_delay_alu instid0(SALU_CYCLE_1)
	s_and_not1_b32 exec_lo, exec_lo, s12
	s_cbranch_execnz .LBB1_347
.LBB1_348:                              ;   in Loop: Header=BB1_280 Depth=1
	s_or_b32 exec_lo, exec_lo, s11
	global_load_b64 v[0:1], v31, s[2:3] offset:16
	s_mov_b32 s12, exec_lo
	s_mov_b32 s11, exec_lo
	v_mbcnt_lo_u32_b32 v2, s12, 0
	s_wait_xcnt 0x0
	s_delay_alu instid0(VALU_DEP_1)
	v_cmpx_eq_u32_e32 0, v2
	s_cbranch_execz .LBB1_350
; %bb.349:                              ;   in Loop: Header=BB1_280 Depth=1
	s_bcnt1_i32_b32 s12, s12
	s_delay_alu instid0(SALU_CYCLE_1)
	v_dual_mov_b32 v3, v31 :: v_dual_mov_b32 v2, s12
	global_wb scope:SCOPE_SYS
	s_wait_loadcnt 0x0
	s_wait_storecnt 0x0
	global_atomic_add_u64 v[0:1], v[2:3], off offset:8 scope:SCOPE_SYS
.LBB1_350:                              ;   in Loop: Header=BB1_280 Depth=1
	s_wait_xcnt 0x0
	s_or_b32 exec_lo, exec_lo, s11
	s_wait_loadcnt 0x0
	global_load_b64 v[2:3], v[0:1], off offset:16
	s_wait_loadcnt 0x0
	v_cmp_eq_u64_e32 vcc_lo, 0, v[2:3]
	s_cbranch_vccnz .LBB1_352
; %bb.351:                              ;   in Loop: Header=BB1_280 Depth=1
	global_load_b32 v0, v[0:1], off offset:24
	s_wait_xcnt 0x0
	v_mov_b32_e32 v1, v31
	s_wait_loadcnt 0x0
	v_readfirstlane_b32 s11, v0
	global_wb scope:SCOPE_SYS
	s_wait_storecnt 0x0
	global_store_b64 v[2:3], v[0:1], off scope:SCOPE_SYS
	s_and_b32 m0, s11, 0xffffff
	s_sendmsg sendmsg(MSG_INTERRUPT)
.LBB1_352:                              ;   in Loop: Header=BB1_280 Depth=1
	s_wait_xcnt 0x0
	s_or_b32 exec_lo, exec_lo, s1
	v_add_nc_u64_e32 v[0:1], v[6:7], v[30:31]
	s_branch .LBB1_356
.LBB1_353:                              ;   in Loop: Header=BB1_356 Depth=2
	s_wait_xcnt 0x0
	s_or_b32 exec_lo, exec_lo, s1
	s_delay_alu instid0(VALU_DEP_1)
	v_readfirstlane_b32 s1, v2
	s_cmp_eq_u32 s1, 0
	s_cbranch_scc1 .LBB1_355
; %bb.354:                              ;   in Loop: Header=BB1_356 Depth=2
	s_sleep 1
	s_cbranch_execnz .LBB1_356
	s_branch .LBB1_358
.LBB1_355:                              ;   in Loop: Header=BB1_280 Depth=1
	s_branch .LBB1_358
.LBB1_356:                              ;   Parent Loop BB1_280 Depth=1
                                        ; =>  This Inner Loop Header: Depth=2
	v_mov_b32_e32 v2, 1
	s_and_saveexec_b32 s1, s0
	s_cbranch_execz .LBB1_353
; %bb.357:                              ;   in Loop: Header=BB1_356 Depth=2
	global_load_b32 v2, v[34:35], off offset:20 scope:SCOPE_SYS
	s_wait_loadcnt 0x0
	global_inv scope:SCOPE_SYS
	v_and_b32_e32 v2, 1, v2
	s_branch .LBB1_353
.LBB1_358:                              ;   in Loop: Header=BB1_280 Depth=1
	global_load_b64 v[0:1], v[0:1], off
	s_wait_xcnt 0x0
	s_and_saveexec_b32 s11, s0
	s_cbranch_execz .LBB1_279
; %bb.359:                              ;   in Loop: Header=BB1_280 Depth=1
	s_clause 0x2
	global_load_b64 v[2:3], v31, s[2:3] offset:40
	global_load_b64 v[14:15], v31, s[2:3] offset:24 scope:SCOPE_SYS
	global_load_b64 v[6:7], v31, s[2:3]
	s_wait_loadcnt 0x2
	v_readfirstlane_b32 s12, v2
	v_readfirstlane_b32 s13, v3
	s_add_nc_u64 s[0:1], s[12:13], 1
	s_delay_alu instid0(SALU_CYCLE_1) | instskip(NEXT) | instid1(SALU_CYCLE_1)
	s_add_nc_u64 s[4:5], s[0:1], s[4:5]
	s_cmp_eq_u64 s[4:5], 0
	s_cselect_b32 s1, s1, s5
	s_cselect_b32 s0, s0, s4
	s_delay_alu instid0(SALU_CYCLE_1) | instskip(SKIP_1) | instid1(SALU_CYCLE_1)
	v_dual_mov_b32 v13, s1 :: v_dual_mov_b32 v12, s0
	s_and_b64 s[4:5], s[0:1], s[12:13]
	s_mul_u64 s[4:5], s[4:5], 24
	s_wait_loadcnt 0x0
	v_add_nc_u64_e32 v[2:3], s[4:5], v[6:7]
	global_store_b64 v[2:3], v[14:15], off
	global_wb scope:SCOPE_SYS
	s_wait_storecnt 0x0
	s_wait_xcnt 0x0
	global_atomic_cmpswap_b64 v[12:13], v31, v[12:15], s[2:3] offset:24 th:TH_ATOMIC_RETURN scope:SCOPE_SYS
	s_wait_loadcnt 0x0
	v_cmp_ne_u64_e32 vcc_lo, v[12:13], v[14:15]
	s_and_b32 exec_lo, exec_lo, vcc_lo
	s_cbranch_execz .LBB1_279
; %bb.360:                              ;   in Loop: Header=BB1_280 Depth=1
	s_mov_b32 s4, 0
.LBB1_361:                              ;   Parent Loop BB1_280 Depth=1
                                        ; =>  This Inner Loop Header: Depth=2
	v_dual_mov_b32 v10, s0 :: v_dual_mov_b32 v11, s1
	s_sleep 1
	global_store_b64 v[2:3], v[12:13], off
	global_wb scope:SCOPE_SYS
	s_wait_storecnt 0x0
	s_wait_xcnt 0x0
	global_atomic_cmpswap_b64 v[6:7], v31, v[10:13], s[2:3] offset:24 th:TH_ATOMIC_RETURN scope:SCOPE_SYS
	s_wait_loadcnt 0x0
	v_cmp_eq_u64_e32 vcc_lo, v[6:7], v[12:13]
	v_mov_b64_e32 v[12:13], v[6:7]
	s_or_b32 s4, vcc_lo, s4
	s_delay_alu instid0(SALU_CYCLE_1)
	s_and_not1_b32 exec_lo, exec_lo, s4
	s_cbranch_execnz .LBB1_361
	s_branch .LBB1_279
.LBB1_362:
	s_or_b32 exec_lo, exec_lo, s7
                                        ; implicit-def: $vgpr30
                                        ; implicit-def: $vgpr48
.LBB1_363:
	s_and_not1_saveexec_b32 s6, s6
	s_cbranch_execz .LBB1_391
; %bb.364:
	v_readfirstlane_b32 s0, v48
	v_mov_b64_e32 v[2:3], 0
	s_delay_alu instid0(VALU_DEP_2)
	v_cmp_eq_u32_e64 s0, s0, v48
	s_and_saveexec_b32 s1, s0
	s_cbranch_execz .LBB1_370
; %bb.365:
	v_mov_b32_e32 v4, 0
	s_mov_b32 s4, exec_lo
	global_load_b64 v[8:9], v4, s[2:3] offset:24 scope:SCOPE_SYS
	s_wait_loadcnt 0x0
	global_inv scope:SCOPE_SYS
	s_clause 0x1
	global_load_b64 v[2:3], v4, s[2:3] offset:40
	global_load_b64 v[6:7], v4, s[2:3]
	s_wait_loadcnt 0x1
	v_and_b32_e32 v2, v2, v8
	v_and_b32_e32 v3, v3, v9
	s_delay_alu instid0(VALU_DEP_1) | instskip(SKIP_1) | instid1(VALU_DEP_1)
	v_mul_u64_e32 v[2:3], 24, v[2:3]
	s_wait_loadcnt 0x0
	v_add_nc_u64_e32 v[2:3], v[6:7], v[2:3]
	global_load_b64 v[6:7], v[2:3], off scope:SCOPE_SYS
	s_wait_xcnt 0x0
	s_wait_loadcnt 0x0
	global_atomic_cmpswap_b64 v[2:3], v4, v[6:9], s[2:3] offset:24 th:TH_ATOMIC_RETURN scope:SCOPE_SYS
	s_wait_loadcnt 0x0
	global_inv scope:SCOPE_SYS
	s_wait_xcnt 0x0
	v_cmpx_ne_u64_e64 v[2:3], v[8:9]
	s_cbranch_execz .LBB1_369
; %bb.366:
	s_mov_b32 s5, 0
.LBB1_367:                              ; =>This Inner Loop Header: Depth=1
	s_sleep 1
	s_clause 0x1
	global_load_b64 v[6:7], v4, s[2:3] offset:40
	global_load_b64 v[10:11], v4, s[2:3]
	v_mov_b64_e32 v[8:9], v[2:3]
	s_wait_loadcnt 0x1
	s_delay_alu instid0(VALU_DEP_1) | instskip(NEXT) | instid1(VALU_DEP_2)
	v_and_b32_e32 v2, v6, v8
	v_and_b32_e32 v5, v7, v9
	s_wait_loadcnt 0x0
	s_delay_alu instid0(VALU_DEP_2) | instskip(NEXT) | instid1(VALU_DEP_1)
	v_mad_nc_u64_u32 v[2:3], v2, 24, v[10:11]
	v_mad_u32 v3, v5, 24, v3
	global_load_b64 v[6:7], v[2:3], off scope:SCOPE_SYS
	s_wait_xcnt 0x0
	s_wait_loadcnt 0x0
	global_atomic_cmpswap_b64 v[2:3], v4, v[6:9], s[2:3] offset:24 th:TH_ATOMIC_RETURN scope:SCOPE_SYS
	s_wait_loadcnt 0x0
	global_inv scope:SCOPE_SYS
	v_cmp_eq_u64_e32 vcc_lo, v[2:3], v[8:9]
	s_or_b32 s5, vcc_lo, s5
	s_wait_xcnt 0x0
	s_and_not1_b32 exec_lo, exec_lo, s5
	s_cbranch_execnz .LBB1_367
; %bb.368:
	s_or_b32 exec_lo, exec_lo, s5
.LBB1_369:
	s_delay_alu instid0(SALU_CYCLE_1)
	s_or_b32 exec_lo, exec_lo, s4
.LBB1_370:
	s_delay_alu instid0(SALU_CYCLE_1)
	s_or_b32 exec_lo, exec_lo, s1
	v_readfirstlane_b32 s4, v2
	v_mov_b32_e32 v31, 0
	v_readfirstlane_b32 s5, v3
	s_mov_b32 s1, exec_lo
	s_clause 0x1
	global_load_b64 v[8:9], v31, s[2:3] offset:40
	global_load_b128 v[4:7], v31, s[2:3]
	s_wait_loadcnt 0x1
	v_and_b32_e32 v2, s4, v8
	v_and_b32_e32 v3, s5, v9
	s_delay_alu instid0(VALU_DEP_1) | instskip(SKIP_1) | instid1(VALU_DEP_1)
	v_mul_u64_e32 v[8:9], 24, v[2:3]
	s_wait_loadcnt 0x0
	v_add_nc_u64_e32 v[8:9], v[4:5], v[8:9]
	s_wait_xcnt 0x0
	s_and_saveexec_b32 s7, s0
	s_cbranch_execz .LBB1_372
; %bb.371:
	v_mov_b64_e32 v[12:13], 0x100000002
	v_dual_mov_b32 v10, s1 :: v_dual_mov_b32 v11, v31
	global_store_b128 v[8:9], v[10:13], off offset:8
.LBB1_372:
	s_wait_xcnt 0x0
	s_or_b32 exec_lo, exec_lo, s7
	v_lshlrev_b64_e32 v[2:3], 12, v[2:3]
	s_mov_b32 s12, 0
	v_and_or_b32 v0, 0xffffff1f, v0, 32
	s_mov_b32 s13, s12
	s_mov_b32 s14, s12
	;; [unrolled: 1-line block ×3, first 2 shown]
	v_mov_b64_e32 v[10:11], s[12:13]
	v_add_nc_u64_e32 v[6:7], v[6:7], v[2:3]
	v_mov_b64_e32 v[12:13], s[14:15]
	v_dual_mov_b32 v2, v31 :: v_dual_mov_b32 v3, v31
	s_delay_alu instid0(VALU_DEP_3) | instskip(NEXT) | instid1(VALU_DEP_4)
	v_readfirstlane_b32 s10, v6
	v_readfirstlane_b32 s11, v7
	s_clause 0x3
	global_store_b128 v30, v[0:3], s[10:11]
	global_store_b128 v30, v[10:13], s[10:11] offset:16
	global_store_b128 v30, v[10:13], s[10:11] offset:32
	global_store_b128 v30, v[10:13], s[10:11] offset:48
	s_wait_xcnt 0x0
	s_and_saveexec_b32 s1, s0
	s_cbranch_execz .LBB1_380
; %bb.373:
	v_dual_mov_b32 v10, 0 :: v_dual_mov_b32 v13, s5
	s_mov_b32 s7, exec_lo
	s_clause 0x1
	global_load_b64 v[14:15], v10, s[2:3] offset:32 scope:SCOPE_SYS
	global_load_b64 v[0:1], v10, s[2:3] offset:40
	s_wait_loadcnt 0x0
	v_dual_mov_b32 v12, s4 :: v_dual_bitop2_b32 v1, s5, v1 bitop3:0x40
	v_and_b32_e32 v0, s4, v0
	s_delay_alu instid0(VALU_DEP_1) | instskip(NEXT) | instid1(VALU_DEP_1)
	v_mul_u64_e32 v[0:1], 24, v[0:1]
	v_add_nc_u64_e32 v[4:5], v[4:5], v[0:1]
	global_store_b64 v[4:5], v[14:15], off
	global_wb scope:SCOPE_SYS
	s_wait_storecnt 0x0
	s_wait_xcnt 0x0
	global_atomic_cmpswap_b64 v[2:3], v10, v[12:15], s[2:3] offset:32 th:TH_ATOMIC_RETURN scope:SCOPE_SYS
	s_wait_loadcnt 0x0
	v_cmpx_ne_u64_e64 v[2:3], v[14:15]
	s_cbranch_execz .LBB1_376
; %bb.374:
	s_mov_b32 s10, 0
.LBB1_375:                              ; =>This Inner Loop Header: Depth=1
	v_dual_mov_b32 v0, s4 :: v_dual_mov_b32 v1, s5
	s_sleep 1
	global_store_b64 v[4:5], v[2:3], off
	global_wb scope:SCOPE_SYS
	s_wait_storecnt 0x0
	s_wait_xcnt 0x0
	global_atomic_cmpswap_b64 v[0:1], v10, v[0:3], s[2:3] offset:32 th:TH_ATOMIC_RETURN scope:SCOPE_SYS
	s_wait_loadcnt 0x0
	v_cmp_eq_u64_e32 vcc_lo, v[0:1], v[2:3]
	v_mov_b64_e32 v[2:3], v[0:1]
	s_or_b32 s10, vcc_lo, s10
	s_delay_alu instid0(SALU_CYCLE_1)
	s_and_not1_b32 exec_lo, exec_lo, s10
	s_cbranch_execnz .LBB1_375
.LBB1_376:
	s_or_b32 exec_lo, exec_lo, s7
	v_mov_b32_e32 v3, 0
	s_mov_b32 s10, exec_lo
	s_mov_b32 s7, exec_lo
	v_mbcnt_lo_u32_b32 v2, s10, 0
	global_load_b64 v[0:1], v3, s[2:3] offset:16
	s_wait_xcnt 0x0
	v_cmpx_eq_u32_e32 0, v2
	s_cbranch_execz .LBB1_378
; %bb.377:
	s_bcnt1_i32_b32 s10, s10
	s_delay_alu instid0(SALU_CYCLE_1)
	v_mov_b32_e32 v2, s10
	global_wb scope:SCOPE_SYS
	s_wait_loadcnt 0x0
	s_wait_storecnt 0x0
	global_atomic_add_u64 v[0:1], v[2:3], off offset:8 scope:SCOPE_SYS
.LBB1_378:
	s_wait_xcnt 0x0
	s_or_b32 exec_lo, exec_lo, s7
	s_wait_loadcnt 0x0
	global_load_b64 v[2:3], v[0:1], off offset:16
	s_wait_loadcnt 0x0
	v_cmp_eq_u64_e32 vcc_lo, 0, v[2:3]
	s_cbranch_vccnz .LBB1_380
; %bb.379:
	global_load_b32 v0, v[0:1], off offset:24
	s_wait_xcnt 0x0
	v_mov_b32_e32 v1, 0
	s_wait_loadcnt 0x0
	v_readfirstlane_b32 s7, v0
	global_wb scope:SCOPE_SYS
	s_wait_storecnt 0x0
	global_store_b64 v[2:3], v[0:1], off scope:SCOPE_SYS
	s_and_b32 m0, s7, 0xffffff
	s_sendmsg sendmsg(MSG_INTERRUPT)
.LBB1_380:
	s_wait_xcnt 0x0
	s_or_b32 exec_lo, exec_lo, s1
	v_add_nc_u64_e32 v[0:1], v[6:7], v[30:31]
	s_branch .LBB1_384
.LBB1_381:                              ;   in Loop: Header=BB1_384 Depth=1
	s_wait_xcnt 0x0
	s_or_b32 exec_lo, exec_lo, s1
	s_delay_alu instid0(VALU_DEP_1)
	v_readfirstlane_b32 s1, v2
	s_cmp_eq_u32 s1, 0
	s_cbranch_scc1 .LBB1_383
; %bb.382:                              ;   in Loop: Header=BB1_384 Depth=1
	s_sleep 1
	s_cbranch_execnz .LBB1_384
	s_branch .LBB1_386
.LBB1_383:
	s_branch .LBB1_386
.LBB1_384:                              ; =>This Inner Loop Header: Depth=1
	v_mov_b32_e32 v2, 1
	s_and_saveexec_b32 s1, s0
	s_cbranch_execz .LBB1_381
; %bb.385:                              ;   in Loop: Header=BB1_384 Depth=1
	global_load_b32 v2, v[8:9], off offset:20 scope:SCOPE_SYS
	s_wait_loadcnt 0x0
	global_inv scope:SCOPE_SYS
	v_and_b32_e32 v2, 1, v2
	s_branch .LBB1_381
.LBB1_386:
	global_load_b64 v[0:1], v[0:1], off
	s_wait_xcnt 0x0
	s_and_saveexec_b32 s7, s0
	s_cbranch_execz .LBB1_390
; %bb.387:
	v_mov_b32_e32 v8, 0
	s_clause 0x2
	global_load_b64 v[2:3], v8, s[2:3] offset:40
	global_load_b64 v[12:13], v8, s[2:3] offset:24 scope:SCOPE_SYS
	global_load_b64 v[4:5], v8, s[2:3]
	s_wait_loadcnt 0x2
	v_readfirstlane_b32 s10, v2
	v_readfirstlane_b32 s11, v3
	s_add_nc_u64 s[0:1], s[10:11], 1
	s_delay_alu instid0(SALU_CYCLE_1) | instskip(NEXT) | instid1(SALU_CYCLE_1)
	s_add_nc_u64 s[4:5], s[0:1], s[4:5]
	s_cmp_eq_u64 s[4:5], 0
	s_cselect_b32 s1, s1, s5
	s_cselect_b32 s0, s0, s4
	v_mov_b32_e32 v11, s1
	s_and_b64 s[4:5], s[0:1], s[10:11]
	v_mov_b32_e32 v10, s0
	s_mul_u64 s[4:5], s[4:5], 24
	s_wait_loadcnt 0x0
	v_add_nc_u64_e32 v[6:7], s[4:5], v[4:5]
	global_store_b64 v[6:7], v[12:13], off
	global_wb scope:SCOPE_SYS
	s_wait_storecnt 0x0
	s_wait_xcnt 0x0
	global_atomic_cmpswap_b64 v[4:5], v8, v[10:13], s[2:3] offset:24 th:TH_ATOMIC_RETURN scope:SCOPE_SYS
	s_wait_loadcnt 0x0
	v_cmp_ne_u64_e32 vcc_lo, v[4:5], v[12:13]
	s_and_b32 exec_lo, exec_lo, vcc_lo
	s_cbranch_execz .LBB1_390
; %bb.388:
	s_mov_b32 s4, 0
.LBB1_389:                              ; =>This Inner Loop Header: Depth=1
	v_dual_mov_b32 v2, s0 :: v_dual_mov_b32 v3, s1
	s_sleep 1
	global_store_b64 v[6:7], v[4:5], off
	global_wb scope:SCOPE_SYS
	s_wait_storecnt 0x0
	s_wait_xcnt 0x0
	global_atomic_cmpswap_b64 v[2:3], v8, v[2:5], s[2:3] offset:24 th:TH_ATOMIC_RETURN scope:SCOPE_SYS
	s_wait_loadcnt 0x0
	v_cmp_eq_u64_e32 vcc_lo, v[2:3], v[4:5]
	v_mov_b64_e32 v[4:5], v[2:3]
	s_or_b32 s4, vcc_lo, s4
	s_delay_alu instid0(SALU_CYCLE_1)
	s_and_not1_b32 exec_lo, exec_lo, s4
	s_cbranch_execnz .LBB1_389
.LBB1_390:
	s_or_b32 exec_lo, exec_lo, s7
.LBB1_391:
	s_delay_alu instid0(SALU_CYCLE_1)
	s_or_b32 exec_lo, exec_lo, s6
	s_get_pc_i64 s[0:1]
	s_add_nc_u64 s[0:1], s[0:1], .str.3@rel64+4
	s_get_pc_i64 s[2:3]
	s_add_nc_u64 s[2:3], s[2:3], .str.3@rel64+32
	v_dual_mov_b32 v2, s0 :: v_dual_mov_b32 v3, s1
	s_sub_co_i32 s4, s2, s0
	v_mov_b32_e32 v6, 1
	s_ashr_i32 s5, s4, 31
	s_delay_alu instid0(SALU_CYCLE_1) | instskip(SKIP_2) | instid1(SALU_CYCLE_1)
	v_dual_mov_b32 v4, s4 :: v_dual_mov_b32 v5, s5
	s_get_pc_i64 s[2:3]
	s_add_nc_u64 s[2:3], s[2:3], __ockl_fprintf_append_string_n@rel64+4
	s_swap_pc_i64 s[30:31], s[2:3]
	s_trap 2
.Lfunc_end1:
	.size	__assert_fail, .Lfunc_end1-__assert_fail
                                        ; -- End function
	.set .L__assert_fail.num_vgpr, max(49, .L__ockl_fprintf_append_string_n.num_vgpr)
	.set .L__assert_fail.num_agpr, max(0, .L__ockl_fprintf_append_string_n.num_agpr)
	.set .L__assert_fail.numbered_sgpr, max(34, .L__ockl_fprintf_append_string_n.numbered_sgpr)
	.set .L__assert_fail.num_named_barrier, max(0, .L__ockl_fprintf_append_string_n.num_named_barrier)
	.set .L__assert_fail.private_seg_size, 64+max(.L__ockl_fprintf_append_string_n.private_seg_size)
	.set .L__assert_fail.uses_vcc, or(1, .L__ockl_fprintf_append_string_n.uses_vcc)
	.set .L__assert_fail.uses_flat_scratch, or(1, .L__ockl_fprintf_append_string_n.uses_flat_scratch)
	.set .L__assert_fail.has_dyn_sized_stack, or(0, .L__ockl_fprintf_append_string_n.has_dyn_sized_stack)
	.set .L__assert_fail.has_recursion, or(0, .L__ockl_fprintf_append_string_n.has_recursion)
	.set .L__assert_fail.has_indirect_call, or(0, .L__ockl_fprintf_append_string_n.has_indirect_call)
	.section	.AMDGPU.csdata,"",@progbits
; Function info:
; codeLenInByte = 15740
; TotalNumSgprs: 36
; NumVgprs: 49
; ScratchSize: 64
; MemoryBound: 0
	.text
	.p2align	2                               ; -- Begin function _ZN12_GLOBAL__N_17runRingIf8FuncProdIfE11ProtoSimpleILi2ELi2ELi0ELi1ELi0ELi0EELi0ELi0ELi1ELi0EEEviiP15ncclDevWorkColl
	.type	_ZN12_GLOBAL__N_17runRingIf8FuncProdIfE11ProtoSimpleILi2ELi2ELi0ELi1ELi0ELi0EELi0ELi0ELi1ELi0EEEviiP15ncclDevWorkColl,@function
_ZN12_GLOBAL__N_17runRingIf8FuncProdIfE11ProtoSimpleILi2ELi2ELi0ELi1ELi0ELi0EELi0ELi0ELi1ELi0EEEviiP15ncclDevWorkColl: ; @_ZN12_GLOBAL__N_17runRingIf8FuncProdIfE11ProtoSimpleILi2ELi2ELi0ELi1ELi0ELi0EELi0ELi0ELi1ELi0EEEviiP15ncclDevWorkColl
; %bb.0:
	s_wait_loadcnt_dscnt 0x0
	s_wait_kmcnt 0x0
	s_mov_b32 s79, s33
	s_mov_b32 s33, s32
	s_or_saveexec_b32 s0, -1
	scratch_store_b32 off, v92, s33 offset:112 ; 4-byte Folded Spill
	s_wait_xcnt 0x0
	s_mov_b32 exec_lo, s0
	s_addk_co_i32 s32, 0x80
	s_clause 0x1b
	scratch_store_b32 off, v40, s33 offset:108
	; meta instruction
	scratch_store_b32 off, v41, s33 offset:104
	; meta instruction
	;; [unrolled: 2-line block ×27, first 2 shown]
	scratch_store_b32 off, v91, s33
	v_writelane_b32 v92, s30, 0
	v_writelane_b32 v92, s31, 1
	s_trap 2
	flat_load_b32 v7, v[2:3]
	ds_load_b32 v6, v0
	s_mov_b32 s0, exec_lo
                                        ; implicit-def: $vgpr32_vgpr33
                                        ; implicit-def: $vgpr14_vgpr15
                                        ; implicit-def: $vgpr4_vgpr5
	s_wait_dscnt 0x0
	v_readfirstlane_b32 s16, v6
	s_wait_loadcnt 0x0
	v_and_b32_e32 v8, 0xff, v7
	s_wait_xcnt 0x0
	s_delay_alu instid0(VALU_DEP_1)
	v_cmpx_ne_u32_e64 v6, v8
	s_xor_b32 s0, exec_lo, s0
	s_cbranch_execz .LBB2_6
; %bb.1:
	v_bfe_u32 v9, v7, 8, 8
	v_not_b32_e32 v8, v8
	s_mov_b32 s1, exec_lo
                                        ; implicit-def: $vgpr32_vgpr33
                                        ; implicit-def: $vgpr14_vgpr15
                                        ; implicit-def: $vgpr4_vgpr5
	s_delay_alu instid0(VALU_DEP_2)
	v_cmpx_ne_u32_e64 v6, v9
	s_xor_b32 s1, exec_lo, s1
	s_cbranch_execz .LBB2_3
; %bb.2:
	s_clause 0x1
	flat_load_b128 v[10:13], v[2:3] offset:72
	flat_load_b64 v[4:5], v[2:3] offset:96
	v_add_nc_u32_e32 v6, v6, v8
                                        ; implicit-def: $vgpr9
                                        ; implicit-def: $vgpr8
	s_wait_loadcnt_dscnt 0x101
	s_delay_alu instid0(VALU_DEP_1) | instskip(SKIP_3) | instid1(VALU_DEP_3)
	v_mad_nc_u64_u32 v[14:15], v12, v6, v[10:11]
	s_wait_loadcnt_dscnt 0x0
	v_lshrrev_b64 v[32:33], 14, v[4:5]
	v_mov_b64_e32 v[4:5], v[12:13]
	v_mad_u32 v7, v13, v6, v15
	v_ashrrev_i32_e32 v6, 31, v6
	s_delay_alu instid0(VALU_DEP_1)
	v_mad_u32 v15, v12, v6, v7
.LBB2_3:
	s_wait_xcnt 0x0
	s_and_not1_saveexec_b32 s1, s1
	s_cbranch_execz .LBB2_5
; %bb.4:
	s_clause 0x1
	flat_load_b128 v[10:13], v[2:3] offset:72
	flat_load_b128 v[4:7], v[2:3] offset:88
	s_wait_loadcnt_dscnt 0x0
	v_dual_add_nc_u32 v6, v9, v8 :: v_dual_lshrrev_b32 v32, 3, v7
	s_delay_alu instid0(VALU_DEP_1) | instskip(NEXT) | instid1(VALU_DEP_1)
	v_mad_nc_u64_u32 v[14:15], v12, v6, v[10:11]
	v_mad_u32 v8, v13, v6, v15
	v_ashrrev_i32_e32 v6, 31, v6
	s_delay_alu instid0(VALU_DEP_1)
	v_mad_u32 v15, v12, v6, v8
.LBB2_5:
	s_wait_xcnt 0x0
	s_or_b32 exec_lo, exec_lo, s1
.LBB2_6:
	s_and_not1_saveexec_b32 s0, s0
	s_cbranch_execz .LBB2_8
; %bb.7:
	s_clause 0x1
	flat_load_b64 v[6:7], v[2:3] offset:96
	flat_load_b64 v[4:5], v[2:3] offset:72
	v_mov_b64_e32 v[14:15], 0
	s_wait_loadcnt_dscnt 0x101
	v_lshlrev_b64_e32 v[32:33], 7, v[6:7]
.LBB2_8:
	s_wait_xcnt 0x0
	s_or_b32 exec_lo, exec_lo, s0
	s_trap 2
	ds_load_b64 v[6:7], v0
	s_mov_b32 s1, 0
	s_mov_b32 s2, exec_lo
	s_wait_dscnt 0x0
	v_cmp_ne_u32_e32 vcc_lo, -1, v6
	v_cndmask_b32_e64 v83, 0, 1, vcc_lo
	v_cmp_ne_u32_e32 vcc_lo, -1, v7
	s_delay_alu instid0(VALU_DEP_2) | instskip(NEXT) | instid1(VALU_DEP_1)
	v_add_co_ci_u32_e64 v8, null, 0, v83, vcc_lo
	v_lshlrev_b32_e32 v6, 1, v8
	s_delay_alu instid0(VALU_DEP_1)
	v_cmpx_le_u32_e64 v6, v1
	s_xor_b32 s42, exec_lo, s2
	s_cbranch_execz .LBB2_1262
; %bb.9:
	s_clause 0x3
	flat_load_b128 v[10:13], v[2:3] offset:16
	flat_load_b64 v[34:35], v[2:3] offset:104
	flat_load_u16 v7, v[2:3] offset:8
	flat_load_b32 v6, v[2:3] offset:4
	s_trap 2
	s_load_b32 s0, s[8:9], 0x0
	s_bfe_u32 s2, ttmp6, 0x4000c
	s_and_b32 s3, ttmp6, 15
	s_add_co_i32 s2, s2, 1
	s_getreg_b32 s4, hwreg(HW_REG_IB_STS2, 6, 4)
	s_mul_i32 s2, ttmp9, s2
	v_dual_mov_b32 v9, 0 :: v_dual_mov_b32 v30, 4
	s_add_co_i32 s3, s3, s2
	s_cmp_eq_u32 s4, 0
	s_cselect_b32 s2, ttmp9, s3
	s_wait_kmcnt 0x0
	s_cmp_lt_u32 s2, s0
	s_cselect_b32 s0, 12, 18
	s_delay_alu instid0(SALU_CYCLE_1)
	s_add_nc_u64 s[0:1], s[8:9], s[0:1]
	global_load_u16 v23, v9, s[0:1]
	s_wait_xcnt 0x0
	ds_load_b32 v9, v0
	s_mov_b32 s1, exec_lo
	s_wait_dscnt 0x0
	v_readfirstlane_b32 s6, v9
	v_cmpx_ge_i32_e64 v0, v83
	s_cbranch_execz .LBB2_19
; %bb.10:
	v_cmp_ge_u32_e64 s0, v0, v8
                                        ; implicit-def: $vgpr30
	s_and_saveexec_b32 s2, s0
	s_delay_alu instid0(SALU_CYCLE_1)
	s_xor_b32 s0, exec_lo, s2
	s_cbranch_execz .LBB2_16
; %bb.11:
	v_cndmask_b32_e64 v9, 0, 1, vcc_lo
	s_mov_b32 s2, exec_lo
	s_delay_alu instid0(VALU_DEP_1) | instskip(NEXT) | instid1(VALU_DEP_1)
	v_sub_nc_u32_e32 v9, v1, v9
	v_cmpx_ge_u32_e64 v0, v9
	s_xor_b32 s2, exec_lo, s2
; %bb.12:
                                        ; implicit-def: $vgpr8
; %bb.13:
	s_delay_alu instid0(SALU_CYCLE_1)
	s_or_saveexec_b32 s2, s2
	v_mov_b32_e32 v30, 16
	s_xor_b32 exec_lo, exec_lo, s2
; %bb.14:
	v_sub_nc_u32_e32 v8, v1, v8
	s_delay_alu instid0(VALU_DEP_1)
	v_cmp_lt_i32_e32 vcc_lo, v0, v8
	v_cndmask_b32_e64 v30, 32, 0, vcc_lo
; %bb.15:
	s_or_b32 exec_lo, exec_lo, s2
.LBB2_16:
	s_and_not1_saveexec_b32 s0, s0
; %bb.17:
	v_mov_b32_e32 v30, 8
; %bb.18:
	s_or_b32 exec_lo, exec_lo, s0
.LBB2_19:
	s_delay_alu instid0(SALU_CYCLE_1) | instskip(NEXT) | instid1(VALU_DEP_1)
	s_or_b32 exec_lo, exec_lo, s1
	v_dual_mov_b32 v33, -1 :: v_dual_bitop2_b32 v8, 36, v30 bitop3:0x40
	s_delay_alu instid0(VALU_DEP_1)
	v_cmp_ne_u32_e32 vcc_lo, 0, v8
	s_and_saveexec_b32 s0, vcc_lo
	s_cbranch_execz .LBB2_21
; %bb.20:
	s_trap 2
	ds_load_b32 v33, v0
.LBB2_21:
	s_or_b32 exec_lo, exec_lo, s0
	v_and_b32_e32 v8, 24, v30
	s_mov_b32 s1, exec_lo
	s_delay_alu instid0(VALU_DEP_1)
	v_cmpx_ne_u32_e32 0, v8
	s_cbranch_execz .LBB2_23
; %bb.22:
	s_trap 2
	s_wait_dscnt 0x0
	ds_load_b32 v33, v0
.LBB2_23:
	s_or_b32 exec_lo, exec_lo, s1
	s_wait_loadcnt 0x1
	v_lshrrev_b64 v[6:7], 31, v[6:7]
	v_mov_b64_e32 v[18:19], 0
                                        ; implicit-def: $vgpr16_vgpr17
                                        ; implicit-def: $vgpr22
                                        ; implicit-def: $vgpr86_vgpr87
                                        ; implicit-def: $vgpr24_vgpr25
                                        ; implicit-def: $vgpr28_vgpr29
                                        ; implicit-def: $vgpr20_vgpr21
	s_delay_alu instid0(VALU_DEP_2) | instskip(SKIP_1) | instid1(VALU_DEP_2)
	v_and_b32_e32 v8, 3, v6
	v_mov_b64_e32 v[6:7], 0
	v_and_b32_e32 v36, 0xffff, v8
	s_and_saveexec_b32 s0, vcc_lo
	s_cbranch_execz .LBB2_33
; %bb.24:
	s_trap 2
	ds_load_b64 v[6:7], v0
	s_mov_b32 s1, exec_lo
                                        ; implicit-def: $vgpr16_vgpr17
	s_wait_dscnt 0x0
	v_readfirstlane_b32 s2, v6
	v_readfirstlane_b32 s3, v7
	flat_load_b64 v[6:7], v33, s[2:3] scale_offset
	s_wait_loadcnt_dscnt 0x0
	v_mad_nc_u64_u32 v[8:9], 0xa8, v36, v[6:7]
	flat_load_b32 v6, v[8:9] offset:640
	s_wait_loadcnt_dscnt 0x0
	v_cmpx_eq_u32_e32 1, v6
	s_cbranch_execz .LBB2_26
; %bb.25:
	flat_load_b64 v[16:17], v[8:9] offset:648
	v_or_b32_e32 v30, 0x2000, v30
	s_wait_loadcnt_dscnt 0x0
	flat_load_b64 v[6:7], v[16:17]
	s_trap 2
	s_wait_loadcnt_dscnt 0x0
	ds_store_b64 v0, v[6:7]
	flat_load_b64 v[6:7], v[16:17] offset:8
	s_wait_loadcnt_dscnt 0x0
	ds_store_b64 v0, v[6:7]
	flat_load_b64 v[6:7], v[16:17] offset:16
	s_wait_loadcnt_dscnt 0x0
	ds_store_b64 v0, v[6:7]
.LBB2_26:
	s_wait_xcnt 0x0
	s_or_b32 exec_lo, exec_lo, s1
	flat_load_b64 v[6:7], v[8:9] offset:608
	s_mov_b32 s1, exec_lo
                                        ; implicit-def: $vgpr20_vgpr21
	s_wait_loadcnt_dscnt 0x0
	v_add_nc_u64_e32 v[86:87], 3, v[6:7]
	v_and_b32_e32 v6, 32, v30
	s_delay_alu instid0(VALU_DEP_2) | instskip(SKIP_1) | instid1(VALU_DEP_2)
	v_and_b32_e32 v86, -4, v86
	s_wait_xcnt 0x0
	v_cmpx_ne_u32_e32 0, v6
	s_cbranch_execz .LBB2_28
; %bb.27:
	flat_load_b64 v[20:21], v[8:9] offset:560
	global_wb scope:SCOPE_SYS
	s_wait_storecnt 0x0
	s_wait_xcnt 0x0
	s_wait_loadcnt_dscnt 0x0
	flat_store_b64 v[20:21], v[86:87] scope:SCOPE_SYS
.LBB2_28:
	s_wait_xcnt 0x0
	s_or_b32 exec_lo, exec_lo, s1
	v_and_b32_e32 v22, 4, v30
	v_add_nc_u64_e32 v[18:19], 0x1f8, v[8:9]
	v_mov_b64_e32 v[6:7], 0
                                        ; implicit-def: $vgpr24_vgpr25
                                        ; implicit-def: $vgpr28_vgpr29
	s_delay_alu instid0(VALU_DEP_3)
	v_cmp_ne_u32_e32 vcc_lo, 0, v22
                                        ; implicit-def: $vgpr22
	s_and_saveexec_b32 s1, vcc_lo
	s_cbranch_execz .LBB2_32
; %bb.29:
	v_and_b32_e32 v6, 0x800, v30
	s_mov_b32 s2, exec_lo
	s_delay_alu instid0(VALU_DEP_1)
	v_cmpx_eq_u32_e32 0, v6
	s_cbranch_execz .LBB2_31
; %bb.30:
	s_trap 2
	ds_store_b64 v0, v[18:19]
.LBB2_31:
	s_or_b32 exec_lo, exec_lo, s2
	flat_load_b64 v[20:21], v[8:9] offset:552
	s_wait_loadcnt_dscnt 0x0
	flat_load_b64 v[28:29], v[20:21] scope:SCOPE_SYS
	s_clause 0x2
	flat_load_b32 v22, v[8:9] offset:576
	flat_load_b64 v[6:7], v[8:9] offset:600
	flat_load_b64 v[24:25], v[8:9] offset:520
	s_wait_xcnt 0x0
	v_or_b32_e32 v8, 0x100, v30
	s_wait_loadcnt_dscnt 0x202
	v_ashrrev_i32_e32 v22, 2, v22
	s_wait_loadcnt_dscnt 0x101
	v_cmp_eq_u64_e32 vcc_lo, 0, v[6:7]
	v_cndmask_b32_e32 v30, v8, v30, vcc_lo
.LBB2_32:
	s_or_b32 exec_lo, exec_lo, s1
.LBB2_33:
	s_delay_alu instid0(SALU_CYCLE_1) | instskip(NEXT) | instid1(VALU_DEP_1)
	s_or_b32 exec_lo, exec_lo, s0
	v_and_b32_e32 v8, 24, v30
	s_mov_b32 s0, exec_lo
                                        ; implicit-def: $vgpr26_vgpr27
	s_delay_alu instid0(VALU_DEP_1)
	v_cmpx_ne_u32_e32 0, v8
	s_cbranch_execz .LBB2_41
; %bb.34:
	s_trap 2
	ds_load_b64 v[6:7], v0
	v_or_b32_e32 v26, 0x100, v30
	s_wait_dscnt 0x0
	v_readfirstlane_b32 s2, v6
	v_readfirstlane_b32 s3, v7
	flat_load_b64 v[6:7], v33, s[2:3] scale_offset
	s_wait_loadcnt_dscnt 0x0
	v_mad_nc_u64_u32 v[18:19], 0xa8, v36, v[6:7]
	flat_load_b128 v[6:9], v[18:19] offset:96
	s_wait_loadcnt_dscnt 0x0
	v_cmp_eq_u64_e32 vcc_lo, 0, v[6:7]
	v_cndmask_b32_e32 v30, v26, v30, vcc_lo
	s_delay_alu instid0(VALU_DEP_1) | instskip(NEXT) | instid1(VALU_DEP_1)
	v_and_b32_e32 v26, 16, v30
	v_cmp_ne_u32_e32 vcc_lo, 0, v26
                                        ; implicit-def: $vgpr26_vgpr27
	s_wait_xcnt 0x0
	s_and_saveexec_b32 s1, vcc_lo
	s_cbranch_execz .LBB2_36
; %bb.35:
	s_clause 0x2
	flat_load_b64 v[20:21], v[18:19] offset:48
	flat_load_b64 v[26:27], v[18:19] offset:120
	;; [unrolled: 1-line block ×3, first 2 shown]
.LBB2_36:
	s_wait_xcnt 0x0
	s_or_b32 exec_lo, exec_lo, s1
	v_add_nc_u64_e32 v[86:87], 3, v[8:9]
	v_and_b32_e32 v8, 8, v30
	s_mov_b32 s1, exec_lo
	s_delay_alu instid0(VALU_DEP_2) | instskip(NEXT) | instid1(VALU_DEP_2)
	v_and_b32_e32 v86, -4, v86
	v_cmpx_ne_u32_e32 0, v8
	s_cbranch_execz .LBB2_40
; %bb.37:
	v_and_b32_e32 v8, 0x800, v30
	s_mov_b32 s2, exec_lo
	s_delay_alu instid0(VALU_DEP_1)
	v_cmpx_eq_u32_e32 0, v8
	s_cbranch_execz .LBB2_39
; %bb.38:
	s_trap 2
	ds_store_b64 v0, v[18:19]
.LBB2_39:
	s_or_b32 exec_lo, exec_lo, s2
	s_wait_loadcnt_dscnt 0x202
	flat_load_b64 v[20:21], v[18:19] offset:56
	s_wait_loadcnt_dscnt 0x0
	flat_load_b64 v[28:29], v[20:21] scope:SCOPE_SYS
	s_clause 0x1
	flat_load_b32 v8, v[18:19] offset:72
	flat_load_b64 v[24:25], v[18:19] offset:16
	s_wait_loadcnt_dscnt 0x101
	v_ashrrev_i32_e32 v22, 2, v8
.LBB2_40:
	s_wait_xcnt 0x0
	s_or_b32 exec_lo, exec_lo, s1
.LBB2_41:
	s_delay_alu instid0(SALU_CYCLE_1)
	s_or_b32 exec_lo, exec_lo, s0
	v_cmp_eq_u32_e64 s0, 0, v0
	s_and_saveexec_b32 s1, s0
	s_cbranch_execz .LBB2_43
; %bb.42:
	flat_load_b64 v[8:9], v[2:3] offset:32
	ds_store_2addr_b64 v0, v[12:13], v[10:11] offset1:1
	s_trap 2
	s_wait_loadcnt_dscnt 0x1
	ds_store_b64 v0, v[8:9]
	ds_store_b64 v0, v[34:35]
.LBB2_43:
	s_wait_xcnt 0x0
	s_or_b32 exec_lo, exec_lo, s1
	v_mov_b64_e32 v[12:13], 0
	s_wait_loadcnt 0x0
	v_and_b32_e32 v56, 0xffff, v23
	s_mov_b32 s43, exec_lo
	v_cmpx_lt_i64_e32 0, v[4:5]
	s_cbranch_execz .LBB2_1228
; %bb.44:
	flat_load_b32 v8, v[2:3] offset:4
	s_wait_xcnt 0x0
	v_and_b32_e32 v2, 0xfffff80, v32
	v_dual_mov_b32 v3, 0 :: v_dual_bitop2_b32 v9, 31, v31 bitop3:0x40
	v_dual_ashrrev_i32 v23, 31, v22 :: v_dual_lshrrev_b32 v32, 5, v1
	v_dual_ashrrev_i32 v10, 31, v0 :: v_dual_lshlrev_b32 v11, 2, v1
	s_ashr_i32 s7, s6, 31
	s_ashr_i32 s17, s16, 31
	s_lshr_b32 s7, s7, 29
	v_dual_mov_b32 v53, v3 :: v_dual_lshlrev_b32 v52, 9, v32
	s_add_co_i32 s7, s6, s7
	v_cmp_eq_u32_e64 s6, 0, v9
	v_dual_lshrrev_b32 v9, 27, v10 :: v_dual_mov_b32 v51, v3
	v_mul_u64_e32 v[48:49], s[16:17], v[2:3]
	v_and_b32_e32 v64, 0x7f80, v11
	v_mov_b64_e32 v[84:85], v[2:3]
	v_add_nc_u32_e32 v66, 0xfffffe00, v52
	v_add_nc_u32_e32 v2, v0, v9
	s_add_co_i32 s44, s16, s16
	v_add_nc_u32_e32 v68, 0xffffff80, v64
	s_not_b32 s10, s16
	v_ashrrev_i32_e32 v67, 31, v66
	v_ashrrev_i32_e32 v60, 5, v2
	v_and_b32_e32 v2, 0xffffffe0, v2
	s_ashr_i32 s11, s7, 5
	s_cmp_gt_i32 s16, 0
	v_ashrrev_i32_e32 v69, 31, v68
	s_cselect_b32 s10, s10, -1
	s_ashr_i32 s7, s7, 31
	v_sub_nc_u32_e32 v61, v0, v2
	s_lshr_b32 s7, s7, 28
	s_add_co_i32 s24, s10, s44
	s_add_co_i32 s11, s11, s7
	s_ashr_i32 s25, s24, 31
	s_ashr_i32 s45, s11, 4
	s_cmp_gt_i32 s16, 2
	v_dual_mov_b32 v57, 1 :: v_dual_lshlrev_b32 v36, 4, v0
	s_cselect_b32 s46, -1, 0
	s_add_co_i32 s13, s16, 1
	v_cmp_ge_i32_e32 vcc_lo, v0, v1
	v_mov_b64_e32 v[34:35], 0
	s_wait_dscnt 0x2
	v_cmp_eq_u64_e64 s4, 0, v[26:27]
	v_cmp_ne_u64_e64 s5, 0, v[26:27]
	v_mov_b64_e32 v[38:39], 0
	v_mov_b64_e32 v[12:13], 0
	v_add_nc_u64_e32 v[70:71], 0x200, v[66:67]
	v_add_nc_u64_e32 v[80:81], 0x80, v[68:69]
	v_cmp_eq_u32_e64 s1, 32, v1
	v_cmp_ne_u32_e64 s2, 32, v1
	v_cmp_ne_u32_e64 s3, v1, v56
	s_wait_dscnt 0x1
	v_dual_mov_b32 v58, 0x90 :: v_dual_mov_b32 v33, v3
	v_dual_mov_b32 v59, 0x88 :: v_dual_lshlrev_b32 v50, 10, v32
	v_dual_mov_b32 v55, v3 :: v_dual_lshlrev_b32 v54, 8, v32
	v_dual_mov_b32 v65, v3 :: v_dual_ashrrev_i32 v37, 31, v36
	s_mov_b32 s19, 0
	s_mov_b64 s[20:21], 0xffffffff
	s_add_nc_u64 s[22:23], s[16:17], -1
	s_mov_b32 s59, 0
	s_trap 2
	v_sub_nc_u32_e32 v62, 0, v60
	s_wait_loadcnt_dscnt 0x0
	v_and_b32_e32 v2, 1, v8
	v_lshlrev_b32_e32 v8, 10, v60
	v_cmp_gt_i32_e64 s10, 1, v61
	v_cmp_lt_i32_e64 s11, v61, v83
	v_cmp_le_i32_e64 s12, v61, v83
	v_cmp_eq_u32_e64 s7, 1, v2
	v_lshl_add_u32 v82, v61, 4, v8
	s_xor_b32 s47, s7, -1
	s_cmp_ge_i32 s13, s16
	s_delay_alu instid0(VALU_DEP_1)
	v_ashrrev_i32_e32 v83, 31, v82
	s_cselect_b32 s14, s16, 0
	s_add_co_i32 s56, s16, -2
	s_sub_co_i32 s28, s13, s14
	s_xor_b32 s57, vcc_lo, -1
	s_ashr_i32 s26, s17, 31
	s_sub_co_i32 s58, 0, s16
	s_ashr_i32 s29, s28, 31
	s_branch .LBB2_47
.LBB2_45:                               ;   in Loop: Header=BB2_47 Depth=1
	s_or_b32 exec_lo, exec_lo, s15
.LBB2_46:                               ;   in Loop: Header=BB2_47 Depth=1
	s_delay_alu instid0(SALU_CYCLE_1) | instskip(SKIP_1) | instid1(VALU_DEP_1)
	s_or_b32 exec_lo, exec_lo, s14
	v_add_nc_u64_e32 v[38:39], v[38:39], v[48:49]
	v_cmp_ge_i64_e32 vcc_lo, v[38:39], v[4:5]
	s_or_b32 s59, vcc_lo, s59
	s_delay_alu instid0(SALU_CYCLE_1)
	s_and_not1_b32 exec_lo, exec_lo, s59
	s_cbranch_execz .LBB2_1227
.LBB2_47:                               ; =>This Loop Header: Depth=1
                                        ;     Child Loop BB2_57 Depth 2
                                        ;       Child Loop BB2_65 Depth 3
                                        ;       Child Loop BB2_89 Depth 3
	;; [unrolled: 1-line block ×9, first 2 shown]
                                        ;     Child Loop BB2_201 Depth 2
                                        ;       Child Loop BB2_207 Depth 3
                                        ;       Child Loop BB2_231 Depth 3
	;; [unrolled: 1-line block ×3, first 2 shown]
                                        ;     Child Loop BB2_275 Depth 2
                                        ;       Child Loop BB2_278 Depth 3
                                        ;         Child Loop BB2_286 Depth 4
                                        ;         Child Loop BB2_314 Depth 4
	;; [unrolled: 1-line block ×9, first 2 shown]
                                        ;       Child Loop BB2_424 Depth 3
                                        ;         Child Loop BB2_430 Depth 4
                                        ;         Child Loop BB2_458 Depth 4
	;; [unrolled: 1-line block ×3, first 2 shown]
                                        ;     Child Loop BB2_499 Depth 2
                                        ;       Child Loop BB2_507 Depth 3
                                        ;       Child Loop BB2_535 Depth 3
	;; [unrolled: 1-line block ×4, first 2 shown]
                                        ;         Child Loop BB2_578 Depth 4
                                        ;       Child Loop BB2_584 Depth 3
                                        ;         Child Loop BB2_585 Depth 4
                                        ;       Child Loop BB2_594 Depth 3
                                        ;       Child Loop BB2_599 Depth 3
                                        ;         Child Loop BB2_600 Depth 4
                                        ;       Child Loop BB2_612 Depth 3
                                        ;       Child Loop BB2_617 Depth 3
	;; [unrolled: 1-line block ×6, first 2 shown]
                                        ;     Child Loop BB2_682 Depth 2
                                        ;       Child Loop BB2_688 Depth 3
                                        ;       Child Loop BB2_716 Depth 3
	;; [unrolled: 1-line block ×3, first 2 shown]
                                        ;     Child Loop BB2_757 Depth 2
                                        ;       Child Loop BB2_760 Depth 3
                                        ;         Child Loop BB2_768 Depth 4
                                        ;         Child Loop BB2_796 Depth 4
	;; [unrolled: 1-line block ×4, first 2 shown]
                                        ;           Child Loop BB2_839 Depth 5
                                        ;         Child Loop BB2_845 Depth 4
                                        ;           Child Loop BB2_846 Depth 5
                                        ;         Child Loop BB2_855 Depth 4
                                        ;         Child Loop BB2_860 Depth 4
                                        ;           Child Loop BB2_861 Depth 5
                                        ;         Child Loop BB2_873 Depth 4
                                        ;         Child Loop BB2_878 Depth 4
	;; [unrolled: 1-line block ×6, first 2 shown]
                                        ;       Child Loop BB2_943 Depth 3
                                        ;         Child Loop BB2_949 Depth 4
                                        ;         Child Loop BB2_977 Depth 4
	;; [unrolled: 1-line block ×3, first 2 shown]
                                        ;     Child Loop BB2_1021 Depth 2
                                        ;       Child Loop BB2_1029 Depth 3
                                        ;       Child Loop BB2_1053 Depth 3
	;; [unrolled: 1-line block ×9, first 2 shown]
                                        ;     Child Loop BB2_1161 Depth 2
                                        ;       Child Loop BB2_1167 Depth 3
                                        ;       Child Loop BB2_1191 Depth 3
	;; [unrolled: 1-line block ×3, first 2 shown]
	v_sub_nc_u64_e32 v[96:97], v[4:5], v[38:39]
	s_mov_b32 s40, exec_lo
	s_delay_alu instid0(VALU_DEP_1)
	v_cmpx_lt_i64_e64 v[96:97], v[48:49]
	s_cbranch_execz .LBB2_53
; %bb.48:                               ;   in Loop: Header=BB2_47 Depth=1
	v_add_nc_u64_e32 v[8:9], s[22:23], v[96:97]
	s_delay_alu instid0(VALU_DEP_1) | instskip(NEXT) | instid1(VALU_DEP_1)
	v_dual_mov_b32 v10, v3 :: v_dual_bitop2_b32 v11, s17, v9 bitop3:0x54
	v_cmp_ne_u64_e32 vcc_lo, 0, v[10:11]
                                        ; implicit-def: $vgpr10_vgpr11
	s_and_saveexec_b32 s13, vcc_lo
	s_delay_alu instid0(SALU_CYCLE_1)
	s_xor_b32 s41, exec_lo, s13
	s_cbranch_execz .LBB2_50
; %bb.49:                               ;   in Loop: Header=BB2_47 Depth=1
	s_mov_b32 s27, s26
	v_dual_mov_b32 v99, v3 :: v_dual_ashrrev_i32 v10, 31, v9
	s_add_nc_u64 s[14:15], s[16:17], s[26:27]
	v_mov_b32_e32 v103, v3
	s_xor_b64 s[14:15], s[14:15], s[26:27]
	s_delay_alu instid0(VALU_DEP_2) | instskip(SKIP_3) | instid1(VALU_DEP_1)
	v_mov_b32_e32 v11, v10
	s_cvt_f32_u32 s13, s14
	s_cvt_f32_u32 s18, s15
	s_sub_nc_u64 s[62:63], 0, s[14:15]
	v_add_nc_u64_e32 v[8:9], v[8:9], v[10:11]
	s_delay_alu instid0(SALU_CYCLE_1) | instskip(NEXT) | instid1(SALU_CYCLE_3)
	s_fmamk_f32 s13, s18, 0x4f800000, s13
	v_s_rcp_f32 s13, s13
	s_delay_alu instid0(VALU_DEP_1) | instskip(NEXT) | instid1(VALU_DEP_2)
	v_xor_b32_e32 v2, v8, v10
	v_xor_b32_e32 v98, v9, v10
	;; [unrolled: 1-line block ×3, first 2 shown]
	s_delay_alu instid0(TRANS32_DEP_1) | instskip(NEXT) | instid1(SALU_CYCLE_3)
	s_mul_f32 s13, s13, 0x5f7ffffc
	s_mul_f32 s18, s13, 0x2f800000
	s_delay_alu instid0(SALU_CYCLE_3) | instskip(NEXT) | instid1(SALU_CYCLE_3)
	s_trunc_f32 s18, s18
	s_fmamk_f32 s13, s18, 0xcf800000, s13
	s_cvt_u32_f32 s61, s18
	s_delay_alu instid0(SALU_CYCLE_2) | instskip(NEXT) | instid1(SALU_CYCLE_3)
	s_cvt_u32_f32 s60, s13
	s_mul_u64 s[72:73], s[62:63], s[60:61]
	s_delay_alu instid0(SALU_CYCLE_1)
	s_mul_hi_u32 s75, s60, s73
	s_mul_i32 s74, s60, s73
	s_mul_hi_u32 s18, s60, s72
	s_mul_i32 s27, s61, s72
	s_add_nc_u64 s[74:75], s[18:19], s[74:75]
	s_mul_hi_u32 s13, s61, s72
	s_mul_hi_u32 s76, s61, s73
	s_add_co_u32 s18, s74, s27
	s_add_co_ci_u32 s18, s75, s13
	s_mul_i32 s72, s61, s73
	s_add_co_ci_u32 s73, s76, 0
	s_delay_alu instid0(SALU_CYCLE_1) | instskip(NEXT) | instid1(SALU_CYCLE_1)
	s_add_nc_u64 s[72:73], s[18:19], s[72:73]
	s_add_co_u32 s60, s60, s72
	s_cselect_b32 s13, -1, 0
	s_delay_alu instid0(SALU_CYCLE_1) | instskip(SKIP_1) | instid1(SALU_CYCLE_1)
	s_cmp_lg_u32 s13, 0
	s_add_co_ci_u32 s61, s61, s73
	s_mul_u64 s[62:63], s[62:63], s[60:61]
	s_delay_alu instid0(SALU_CYCLE_1)
	s_mul_hi_u32 s73, s60, s63
	s_mul_i32 s72, s60, s63
	s_mul_hi_u32 s18, s60, s62
	s_mul_i32 s27, s61, s62
	s_add_nc_u64 s[72:73], s[18:19], s[72:73]
	s_mul_hi_u32 s13, s61, s62
	s_mul_hi_u32 s74, s61, s63
	s_add_co_u32 s18, s72, s27
	s_add_co_ci_u32 s18, s73, s13
	s_mul_i32 s62, s61, s63
	s_add_co_ci_u32 s63, s74, 0
	s_delay_alu instid0(SALU_CYCLE_1) | instskip(NEXT) | instid1(SALU_CYCLE_1)
	s_add_nc_u64 s[62:63], s[18:19], s[62:63]
	s_add_co_u32 s60, s60, s62
	s_cselect_b32 s13, -1, 0
	v_mul_hi_u32 v102, v2, s60
	s_cmp_lg_u32 s13, 0
	s_add_co_ci_u32 s18, s61, s63
	s_and_b64 s[62:63], s[60:61], s[20:21]
	v_mul_u64_e32 v[84:85], s[18:19], v[2:3]
	v_mul_u64_e32 v[8:9], s[62:63], v[98:99]
	;; [unrolled: 1-line block ×3, first 2 shown]
	s_delay_alu instid0(VALU_DEP_3) | instskip(NEXT) | instid1(VALU_DEP_1)
	v_add_nc_u64_e32 v[84:85], v[102:103], v[84:85]
	v_add_co_u32 v8, vcc_lo, v84, v8
	s_delay_alu instid0(VALU_DEP_2) | instskip(NEXT) | instid1(VALU_DEP_4)
	v_add_co_ci_u32_e32 v102, vcc_lo, v85, v9, vcc_lo
	v_add_co_ci_u32_e32 v101, vcc_lo, 0, v101, vcc_lo
	s_delay_alu instid0(VALU_DEP_1) | instskip(NEXT) | instid1(VALU_DEP_1)
	v_add_nc_u64_e32 v[8:9], v[102:103], v[100:101]
	v_mul_u64_e32 v[84:85], s[14:15], v[8:9]
	s_delay_alu instid0(VALU_DEP_1) | instskip(NEXT) | instid1(VALU_DEP_2)
	v_sub_nc_u32_e32 v11, v98, v85
	v_sub_co_u32 v2, vcc_lo, v2, v84
	s_delay_alu instid0(VALU_DEP_1) | instskip(NEXT) | instid1(VALU_DEP_3)
	v_sub_co_ci_u32_e64 v100, null, v98, v85, vcc_lo
	v_subrev_co_ci_u32_e64 v11, null, s15, v11, vcc_lo
	s_delay_alu instid0(VALU_DEP_3) | instskip(SKIP_1) | instid1(VALU_DEP_3)
	v_sub_co_u32 v84, s13, v2, s14
	v_add_nc_u64_e32 v[98:99], 1, v[8:9]
	v_subrev_co_ci_u32_e64 v11, null, 0, v11, s13
	s_delay_alu instid0(VALU_DEP_3) | instskip(SKIP_1) | instid1(VALU_DEP_3)
	v_cmp_le_u32_e32 vcc_lo, s14, v84
	v_cndmask_b32_e64 v84, 0, -1, vcc_lo
	v_cmp_le_u32_e32 vcc_lo, s15, v11
	v_cndmask_b32_e64 v85, 0, -1, vcc_lo
	;; [unrolled: 2-line block ×4, first 2 shown]
	v_cmp_eq_u32_e32 vcc_lo, s15, v11
	v_cndmask_b32_e32 v11, v85, v84, vcc_lo
	v_cmp_eq_u32_e32 vcc_lo, s15, v100
	v_add_nc_u64_e32 v[84:85], 2, v[8:9]
	v_cndmask_b32_e32 v2, v101, v2, vcc_lo
	s_delay_alu instid0(VALU_DEP_4) | instskip(NEXT) | instid1(VALU_DEP_2)
	v_cmp_ne_u32_e32 vcc_lo, 0, v11
	v_cmp_ne_u32_e64 s13, 0, v2
	s_delay_alu instid0(VALU_DEP_4) | instskip(NEXT) | instid1(VALU_DEP_1)
	v_dual_cndmask_b32 v11, v99, v85 :: v_dual_cndmask_b32 v2, v98, v84
	v_dual_cndmask_b32 v9, v9, v11, s13 :: v_dual_cndmask_b32 v2, v8, v2, s13
	s_delay_alu instid0(VALU_DEP_1) | instskip(NEXT) | instid1(VALU_DEP_2)
	v_dual_mov_b32 v11, v10 :: v_dual_bitop2_b32 v9, v9, v10 bitop3:0x14
	v_xor_b32_e32 v8, v2, v10
	s_delay_alu instid0(VALU_DEP_1)
	v_sub_nc_u64_e32 v[10:11], v[8:9], v[10:11]
                                        ; implicit-def: $vgpr8_vgpr9
.LBB2_50:                               ;   in Loop: Header=BB2_47 Depth=1
	s_and_not1_saveexec_b32 s13, s41
	s_cbranch_execz .LBB2_52
; %bb.51:                               ;   in Loop: Header=BB2_47 Depth=1
	v_cvt_f32_u32_e32 v2, s16
	s_delay_alu instid0(VALU_DEP_1) | instskip(SKIP_1) | instid1(TRANS32_DEP_1)
	v_rcp_iflag_f32_e32 v2, v2
	v_nop
	v_mul_f32_e32 v2, 0x4f7ffffe, v2
	s_delay_alu instid0(VALU_DEP_1) | instskip(NEXT) | instid1(VALU_DEP_1)
	v_cvt_u32_f32_e32 v2, v2
	v_mul_lo_u32 v9, s58, v2
	s_delay_alu instid0(VALU_DEP_1) | instskip(NEXT) | instid1(VALU_DEP_1)
	v_mul_hi_u32 v9, v2, v9
	v_add_nc_u32_e32 v2, v2, v9
	s_delay_alu instid0(VALU_DEP_1) | instskip(NEXT) | instid1(VALU_DEP_1)
	v_mul_hi_u32 v2, v8, v2
	v_mul_lo_u32 v9, v2, s16
	s_delay_alu instid0(VALU_DEP_1) | instskip(NEXT) | instid1(VALU_DEP_1)
	v_dual_sub_nc_u32 v8, v8, v9 :: v_dual_add_nc_u32 v9, 1, v2
	v_subrev_nc_u32_e32 v10, s16, v8
	v_cmp_le_u32_e32 vcc_lo, s16, v8
	s_delay_alu instid0(VALU_DEP_2) | instskip(NEXT) | instid1(VALU_DEP_1)
	v_dual_cndmask_b32 v8, v8, v10, vcc_lo :: v_dual_cndmask_b32 v2, v2, v9, vcc_lo
	v_cmp_le_u32_e32 vcc_lo, s16, v8
	s_delay_alu instid0(VALU_DEP_2) | instskip(NEXT) | instid1(VALU_DEP_1)
	v_add_nc_u32_e32 v9, 1, v2
	v_cndmask_b32_e32 v2, v2, v9, vcc_lo
	s_delay_alu instid0(VALU_DEP_1)
	v_mov_b64_e32 v[10:11], v[2:3]
.LBB2_52:                               ;   in Loop: Header=BB2_47 Depth=1
	s_or_b32 exec_lo, exec_lo, s13
	s_delay_alu instid0(VALU_DEP_1) | instskip(NEXT) | instid1(VALU_DEP_1)
	v_add_nc_u64_e32 v[84:85], 3, v[10:11]
	v_and_b32_e32 v84, -4, v84
.LBB2_53:                               ;   in Loop: Header=BB2_47 Depth=1
	s_or_b32 exec_lo, exec_lo, s40
	s_delay_alu instid0(VALU_DEP_1) | instskip(SKIP_2) | instid1(VALU_DEP_3)
	v_mul_u64_e32 v[100:101], s[24:25], v[84:85]
	v_add_nc_u64_e32 v[98:99], v[38:39], v[14:15]
	v_mov_b32_e32 v10, 0
	v_sub_nc_u64_e32 v[8:9], v[96:97], v[100:101]
	s_delay_alu instid0(VALU_DEP_1) | instskip(NEXT) | instid1(VALU_DEP_1)
	v_min_i64 v[8:9], v[84:85], v[8:9]
	v_max_i32_e32 v116, 0, v8
	v_cmp_lt_i32_e32 vcc_lo, 0, v8
	s_delay_alu instid0(VALU_DEP_2) | instskip(SKIP_1) | instid1(VALU_DEP_1)
	v_add_nc_u32_e32 v2, 31, v116
	s_and_b32 s13, s57, vcc_lo
	v_lshrrev_b32_e32 v2, 1, v2
	s_delay_alu instid0(VALU_DEP_1) | instskip(NEXT) | instid1(VALU_DEP_1)
	v_and_b32_e32 v9, 0x3ffffff0, v2
	v_dual_mov_b32 v2, 0 :: v_dual_max_i32 v8, s45, v9
	s_and_saveexec_b32 s14, s13
	s_cbranch_execz .LBB2_197
; %bb.54:                               ;   in Loop: Header=BB2_47 Depth=1
	v_mov_b32_e32 v10, 0
	s_mov_b32 s27, 1
	s_mov_b32 s18, -1
	s_mov_b32 s15, 0
	s_branch .LBB2_57
.LBB2_55:                               ;   in Loop: Header=BB2_57 Depth=2
	s_wait_xcnt 0x0
	s_or_b32 exec_lo, exec_lo, s40
	v_add_nc_u64_e32 v[86:87], 2, v[86:87]
	global_wb scope:SCOPE_SYS
	s_wait_storecnt 0x0
	s_wait_loadcnt_dscnt 0x0
	flat_store_b64 v[20:21], v[86:87] scope:SCOPE_SYS
.LBB2_56:                               ;   in Loop: Header=BB2_57 Depth=2
	s_wait_xcnt 0x0
	s_or_b32 exec_lo, exec_lo, s13
	v_dual_add_nc_u32 v10, v8, v10 :: v_dual_mov_b32 v2, s27
	s_xor_b32 s13, s18, -1
	s_mov_b32 s18, 0
	s_mov_b32 s27, 2
	s_delay_alu instid0(VALU_DEP_1) | instskip(SKIP_1) | instid1(SALU_CYCLE_1)
	v_cmp_ge_i32_e32 vcc_lo, v10, v116
	s_or_b32 s13, s13, vcc_lo
	s_and_b32 s13, exec_lo, s13
	s_delay_alu instid0(SALU_CYCLE_1) | instskip(NEXT) | instid1(SALU_CYCLE_1)
	s_or_b32 s15, s13, s15
	s_and_not1_b32 exec_lo, exec_lo, s15
	s_cbranch_execz .LBB2_196
.LBB2_57:                               ;   Parent Loop BB2_47 Depth=1
                                        ; =>  This Loop Header: Depth=2
                                        ;       Child Loop BB2_65 Depth 3
                                        ;       Child Loop BB2_89 Depth 3
	;; [unrolled: 1-line block ×9, first 2 shown]
	s_and_saveexec_b32 s13, s0
	s_cbranch_execz .LBB2_59
; %bb.58:                               ;   in Loop: Header=BB2_57 Depth=2
	s_trap 2
	ds_load_b64 v[102:103], v0
	v_ashrrev_i32_e32 v11, 31, v10
	s_wait_dscnt 0x0
	v_lshl_add_u64 v[102:103], v[98:99], 2, v[102:103]
	s_delay_alu instid0(VALU_DEP_1) | instskip(NEXT) | instid1(VALU_DEP_1)
	v_lshl_add_u64 v[102:103], v[100:101], 2, v[102:103]
	v_lshl_add_u64 v[102:103], v[10:11], 2, v[102:103]
	ds_store_b64 v0, v[102:103]
	ds_store_b64 v0, v[34:35]
.LBB2_59:                               ;   in Loop: Header=BB2_57 Depth=2
	s_or_b32 exec_lo, exec_lo, s13
	v_sub_nc_u32_e32 v2, v116, v10
	v_and_b32_e32 v9, 8, v30
	s_mov_b32 s40, exec_lo
	s_delay_alu instid0(VALU_DEP_2) | instskip(NEXT) | instid1(VALU_DEP_2)
	v_min_i32_e32 v8, v8, v2
	v_cmpx_ne_u32_e32 0, v9
	s_cbranch_execz .LBB2_81
; %bb.60:                               ;   in Loop: Header=BB2_57 Depth=2
	s_wait_loadcnt_dscnt 0x1
	v_add_nc_u64_e32 v[112:113], 8, v[28:29]
	v_add_nc_u64_e32 v[102:103], 2, v[86:87]
	s_mov_b32 s41, exec_lo
	s_delay_alu instid0(VALU_DEP_1)
	v_cmpx_lt_u64_e64 v[112:113], v[102:103]
	s_cbranch_execz .LBB2_72
; %bb.61:                               ;   in Loop: Header=BB2_57 Depth=2
	v_and_b32_e32 v2, 64, v30
	s_mov_b32 s60, 0
	s_mov_b32 s72, 0
                                        ; implicit-def: $sgpr61
                                        ; implicit-def: $sgpr62
                                        ; implicit-def: $sgpr63
	s_delay_alu instid0(VALU_DEP_1)
	v_cmp_eq_u32_e32 vcc_lo, 0, v2
	s_branch .LBB2_65
.LBB2_62:                               ;   in Loop: Header=BB2_65 Depth=3
	s_wait_loadcnt_dscnt 0x0
	v_add_nc_u64_e32 v[112:113], 8, v[28:29]
	s_or_b32 s75, s75, exec_lo
	s_delay_alu instid0(VALU_DEP_1)
	v_cmp_ge_u64_e64 s13, v[112:113], v[102:103]
	s_or_not1_b32 s74, s13, exec_lo
.LBB2_63:                               ;   in Loop: Header=BB2_65 Depth=3
	s_or_b32 exec_lo, exec_lo, s77
	s_delay_alu instid0(SALU_CYCLE_1)
	s_and_not1_b32 s13, s63, exec_lo
	s_and_b32 s63, s75, exec_lo
	s_and_not1_b32 s62, s62, exec_lo
	s_and_b32 s74, s74, exec_lo
	s_or_b32 s63, s13, s63
	s_or_b32 s62, s62, s74
.LBB2_64:                               ;   in Loop: Header=BB2_65 Depth=3
	s_or_b32 exec_lo, exec_lo, s73
	s_delay_alu instid0(SALU_CYCLE_1) | instskip(NEXT) | instid1(SALU_CYCLE_1)
	s_and_b32 s13, exec_lo, s62
	s_or_b32 s60, s13, s60
	s_and_not1_b32 s13, s61, exec_lo
	s_and_b32 s61, s63, exec_lo
	s_delay_alu instid0(SALU_CYCLE_1)
	s_or_b32 s61, s13, s61
	s_and_not1_b32 exec_lo, exec_lo, s60
	s_cbranch_execz .LBB2_69
.LBB2_65:                               ;   Parent Loop BB2_47 Depth=1
                                        ;     Parent Loop BB2_57 Depth=2
                                        ; =>    This Inner Loop Header: Depth=3
	s_sleep 1
	s_wait_loadcnt_dscnt 0x0
	flat_load_b64 v[28:29], v[20:21] scope:SCOPE_SYS
	s_or_b32 s63, s63, exec_lo
	s_or_b32 s62, s62, exec_lo
                                        ; implicit-def: $vgpr2
	s_wait_xcnt 0x0
	s_and_saveexec_b32 s73, vcc_lo
	s_cbranch_execz .LBB2_64
; %bb.66:                               ;   in Loop: Header=BB2_65 Depth=3
	s_cmp_lt_i32 s72, 0x270f
	s_mov_b32 s74, -1
	s_cselect_b32 s76, -1, 0
	s_cmp_gt_i32 s72, 0x270e
	s_cbranch_scc0 .LBB2_68
; %bb.67:                               ;   in Loop: Header=BB2_65 Depth=3
	s_trap 2
	ds_load_b64 v[112:113], v0
	s_and_not1_b32 s72, s76, exec_lo
	s_mov_b32 s75, 0
	s_wait_storecnt 0x0
	s_wait_loadcnt_dscnt 0x0
	flat_load_b32 v2, v[112:113] scope:SCOPE_SYS
	s_wait_loadcnt_dscnt 0x0
	global_inv scope:SCOPE_SYS
	v_cmp_eq_u32_e64 s13, 0, v2
	s_and_b32 s13, s13, exec_lo
	s_delay_alu instid0(SALU_CYCLE_1)
	s_or_b32 s76, s72, s13
	s_mov_b32 s72, 0
	s_and_saveexec_b32 s77, s76
	s_cbranch_execz .LBB2_63
	s_branch .LBB2_62
.LBB2_68:                               ;   in Loop: Header=BB2_65 Depth=3
	s_add_co_i32 s72, s72, 1
	s_mov_b32 s75, -1
                                        ; implicit-def: $vgpr2
	s_and_saveexec_b32 s77, s76
	s_cbranch_execz .LBB2_63
	s_branch .LBB2_62
.LBB2_69:                               ;   in Loop: Header=BB2_57 Depth=2
	s_or_b32 exec_lo, exec_lo, s60
	s_xor_b32 s13, s61, -1
	s_delay_alu instid0(SALU_CYCLE_1) | instskip(NEXT) | instid1(SALU_CYCLE_1)
	s_and_saveexec_b32 s60, s13
	s_xor_b32 s13, exec_lo, s60
	s_cbranch_execz .LBB2_71
; %bb.70:                               ;   in Loop: Header=BB2_57 Depth=2
	v_or_b32_e32 v30, 64, v30
	s_wait_storecnt 0x0
	s_wait_loadcnt_dscnt 0x0
	ds_store_b32 v0, v2
	s_trap 2
.LBB2_71:                               ;   in Loop: Header=BB2_57 Depth=2
	s_or_b32 exec_lo, exec_lo, s13
.LBB2_72:                               ;   in Loop: Header=BB2_57 Depth=2
	s_delay_alu instid0(SALU_CYCLE_1) | instskip(SKIP_4) | instid1(VALU_DEP_1)
	s_or_b32 exec_lo, exec_lo, s41
	v_and_b32_e32 v2, 0x100, v30
	s_mov_b32 s41, 0
	s_mov_b32 s13, exec_lo
	;;#ASMSTART
	s_wakeup
	;;#ASMEND
                                        ; implicit-def: $vgpr112_vgpr113
	v_cmpx_ne_u32_e32 0, v2
	s_xor_b32 s13, exec_lo, s13
	s_cbranch_execz .LBB2_93
; %bb.73:                               ;   in Loop: Header=BB2_57 Depth=2
	v_dual_ashrrev_i32 v9, 31, v8 :: v_dual_bitop2_b32 v2, 7, v86 bitop3:0x40
	s_mov_b32 s41, -1
	s_mov_b32 s60, exec_lo
	s_delay_alu instid0(VALU_DEP_1) | instskip(NEXT) | instid1(VALU_DEP_2)
	v_mad_nc_u64_u32 v[86:87], v2, 24, v[6:7]
	v_lshlrev_b64_e32 v[112:113], 2, v[8:9]
	s_clause 0x1
	flat_load_b32 v11, v[86:87]
	flat_store_b64 v[86:87], v[112:113] offset:8
                                        ; implicit-def: $vgpr112_vgpr113
	s_wait_loadcnt_dscnt 0x1
	v_cmpx_eq_u32_e32 1, v11
	s_cbranch_execz .LBB2_75
; %bb.74:                               ;   in Loop: Header=BB2_57 Depth=2
	flat_load_b32 v86, v[86:87] offset:4 scope:SCOPE_SYS
	s_xor_b32 s41, exec_lo, -1
	s_wait_loadcnt_dscnt 0x0
	v_ashrrev_i32_e32 v87, 31, v86
	s_delay_alu instid0(VALU_DEP_1)
	v_lshrrev_b64 v[112:113], 2, v[86:87]
.LBB2_75:                               ;   in Loop: Header=BB2_57 Depth=2
	s_or_b32 exec_lo, exec_lo, s60
	s_delay_alu instid0(SALU_CYCLE_1)
	s_and_b32 s41, s41, exec_lo
                                        ; implicit-def: $vgpr86_vgpr87
	s_and_not1_saveexec_b32 s13, s13
	s_cbranch_execnz .LBB2_94
.LBB2_76:                               ;   in Loop: Header=BB2_57 Depth=2
	s_or_b32 exec_lo, exec_lo, s13
	s_and_saveexec_b32 s13, s41
.LBB2_77:                               ;   in Loop: Header=BB2_57 Depth=2
	v_mul_u64_e32 v[112:113], v[2:3], v[22:23]
.LBB2_78:                               ;   in Loop: Header=BB2_57 Depth=2
	s_or_b32 exec_lo, exec_lo, s13
	v_and_b32_e32 v2, 0x2000, v30
	s_delay_alu instid0(VALU_DEP_2)
	v_lshl_add_u64 v[86:87], v[112:113], 2, v[24:25]
	s_mov_b32 s13, exec_lo
	ds_store_b64 v0, v[86:87] offset:784
	v_cmpx_ne_u32_e32 0, v2
	s_cbranch_execz .LBB2_80
; %bb.79:                               ;   in Loop: Header=BB2_57 Depth=2
	ds_load_b64 v[86:87], v0 offset:872
	s_wait_dscnt 0x0
	v_add_nc_u64_e32 v[86:87], 1, v[86:87]
	ds_store_b64 v0, v[86:87] offset:872
.LBB2_80:                               ;   in Loop: Header=BB2_57 Depth=2
	s_or_b32 exec_lo, exec_lo, s13
	v_mov_b64_e32 v[86:87], v[102:103]
.LBB2_81:                               ;   in Loop: Header=BB2_57 Depth=2
	s_or_b32 exec_lo, exec_lo, s40
	s_and_saveexec_b32 s13, s2
	s_cbranch_execz .LBB2_102
; %bb.82:                               ;   in Loop: Header=BB2_57 Depth=2
	s_and_saveexec_b32 s40, s3
	s_delay_alu instid0(SALU_CYCLE_1)
	s_xor_b32 s40, exec_lo, s40
	s_cbranch_execz .LBB2_99
; %bb.83:                               ;   in Loop: Header=BB2_57 Depth=2
	s_and_saveexec_b32 s41, s6
	s_cbranch_execz .LBB2_98
; %bb.84:                               ;   in Loop: Header=BB2_57 Depth=2
	s_mov_b32 s61, exec_lo
	s_mov_b32 s60, exec_lo
	v_mbcnt_lo_u32_b32 v2, s61, 0
	global_wb scope:SCOPE_DEV
	s_wait_storecnt 0x0
	s_wait_loadcnt_dscnt 0x0
	global_inv scope:SCOPE_DEV
	v_cmpx_eq_u32_e32 0, v2
	s_cbranch_execz .LBB2_86
; %bb.85:                               ;   in Loop: Header=BB2_57 Depth=2
	s_bcnt1_i32_b32 s61, s61
	s_delay_alu instid0(SALU_CYCLE_1)
	v_mov_b32_e32 v2, s61
	s_wait_loadcnt 0x0
	ds_add_u64 v0, v[2:3]
	s_trap 2
.LBB2_86:                               ;   in Loop: Header=BB2_57 Depth=2
	s_or_b32 exec_lo, exec_lo, s60
	s_trap 2
	ds_load_b64 v[102:103], v0
	s_wait_dscnt 0x0
	v_add_nc_u64_e32 v[12:13], v[12:13], v[32:33]
	s_mov_b32 s60, exec_lo
	s_delay_alu instid0(VALU_DEP_1)
	v_cmpx_lt_u64_e64 v[102:103], v[12:13]
	s_cbranch_execz .LBB2_97
; %bb.87:                               ;   in Loop: Header=BB2_57 Depth=2
	s_mov_b32 s61, 0
	s_mov_b32 s72, 0
                                        ; implicit-def: $sgpr62
                                        ; implicit-def: $sgpr63
	s_branch .LBB2_89
.LBB2_88:                               ;   in Loop: Header=BB2_89 Depth=3
	s_or_b32 exec_lo, exec_lo, s74
	s_delay_alu instid0(SALU_CYCLE_1) | instskip(NEXT) | instid1(SALU_CYCLE_1)
	s_and_b32 s73, exec_lo, s75
	s_or_b32 s61, s73, s61
	s_and_not1_b32 s62, s62, exec_lo
	s_and_b32 s73, s63, exec_lo
	s_delay_alu instid0(SALU_CYCLE_1)
	s_or_b32 s62, s62, s73
	s_and_not1_b32 exec_lo, exec_lo, s61
	s_cbranch_execz .LBB2_95
.LBB2_89:                               ;   Parent Loop BB2_47 Depth=1
                                        ;     Parent Loop BB2_57 Depth=2
                                        ; =>    This Inner Loop Header: Depth=3
	s_add_co_i32 s72, s72, 1
	s_delay_alu instid0(SALU_CYCLE_1) | instskip(SKIP_1) | instid1(SALU_CYCLE_1)
	s_cmp_lg_u32 s72, 0x2710
	s_cselect_b32 s73, -1, 0
	s_and_b32 vcc_lo, exec_lo, s73
	s_cbranch_vccz .LBB2_91
; %bb.90:                               ;   in Loop: Header=BB2_89 Depth=3
	s_mov_b32 s75, -1
	s_or_b32 s63, s63, exec_lo
	s_and_saveexec_b32 s74, s73
	s_cbranch_execz .LBB2_88
	s_branch .LBB2_92
.LBB2_91:                               ;   in Loop: Header=BB2_89 Depth=3
	s_trap 2
	ds_load_b64 v[102:103], v0
	s_and_not1_b32 s73, s73, exec_lo
	s_mov_b32 s72, 0
	s_wait_loadcnt_dscnt 0x0
	flat_load_b32 v2, v[102:103] scope:SCOPE_SYS
	s_wait_loadcnt_dscnt 0x0
	global_inv scope:SCOPE_SYS
	v_cmp_eq_u32_e32 vcc_lo, 0, v2
	s_and_b32 s74, vcc_lo, exec_lo
	s_delay_alu instid0(SALU_CYCLE_1)
	s_or_b32 s73, s73, s74
	s_mov_b32 s75, -1
	s_or_b32 s63, s63, exec_lo
	s_and_saveexec_b32 s74, s73
	s_cbranch_execz .LBB2_88
.LBB2_92:                               ;   in Loop: Header=BB2_89 Depth=3
	s_sleep 1
	s_trap 2
	ds_load_b64 v[102:103], v0
	s_wait_dscnt 0x0
	s_and_not1_b32 s63, s63, exec_lo
	v_cmp_ge_u64_e32 vcc_lo, v[102:103], v[12:13]
	s_or_not1_b32 s75, vcc_lo, exec_lo
	s_branch .LBB2_88
.LBB2_93:                               ;   in Loop: Header=BB2_57 Depth=2
	s_and_not1_saveexec_b32 s13, s13
	s_cbranch_execz .LBB2_76
.LBB2_94:                               ;   in Loop: Header=BB2_57 Depth=2
	v_and_b32_e32 v2, 7, v86
	s_or_b32 s41, s41, exec_lo
	s_or_b32 exec_lo, exec_lo, s13
	s_and_saveexec_b32 s13, s41
	s_cbranch_execnz .LBB2_77
	s_branch .LBB2_78
.LBB2_95:                               ;   in Loop: Header=BB2_57 Depth=2
	s_or_b32 exec_lo, exec_lo, s61
	s_and_saveexec_b32 s61, s62
	s_delay_alu instid0(SALU_CYCLE_1)
	s_xor_b32 s61, exec_lo, s61
	s_cbranch_execz .LBB2_97
; %bb.96:                               ;   in Loop: Header=BB2_57 Depth=2
	ds_store_b32 v0, v57
	s_trap 2
.LBB2_97:                               ;   in Loop: Header=BB2_57 Depth=2
	s_or_b32 exec_lo, exec_lo, s60
	;;#ASMSTART
	s_wakeup
	;;#ASMEND
.LBB2_98:                               ;   in Loop: Header=BB2_57 Depth=2
	s_or_b32 exec_lo, exec_lo, s41
.LBB2_99:                               ;   in Loop: Header=BB2_57 Depth=2
	s_and_not1_saveexec_b32 s40, s40
	s_cbranch_execz .LBB2_101
; %bb.100:                              ;   in Loop: Header=BB2_57 Depth=2
	global_wb scope:SCOPE_DEV
	s_wait_storecnt 0x0
	s_wait_loadcnt_dscnt 0x0
	global_inv scope:SCOPE_DEV
	s_barrier_signal -1
	s_barrier_wait -1
.LBB2_101:                              ;   in Loop: Header=BB2_57 Depth=2
	s_or_b32 exec_lo, exec_lo, s40
.LBB2_102:                              ;   in Loop: Header=BB2_57 Depth=2
	s_delay_alu instid0(SALU_CYCLE_1) | instskip(SKIP_4) | instid1(VALU_DEP_1)
	s_or_b32 exec_lo, exec_lo, s13
	s_trap 2
	ds_load_b32 v9, v0
	v_and_b32_e32 v2, 0x4000, v30
	s_xor_b32 s13, s1, -1
	v_cmp_ne_u32_e32 vcc_lo, 0, v2
	s_and_b32 s40, s13, vcc_lo
	s_delay_alu instid0(SALU_CYCLE_1)
	s_and_saveexec_b32 s13, s40
	s_cbranch_execz .LBB2_121
; %bb.103:                              ;   in Loop: Header=BB2_57 Depth=2
	s_and_saveexec_b32 s40, s3
	s_delay_alu instid0(SALU_CYCLE_1)
	s_xor_b32 s40, exec_lo, s40
	s_cbranch_execz .LBB2_118
; %bb.104:                              ;   in Loop: Header=BB2_57 Depth=2
	s_and_saveexec_b32 s41, s6
	s_cbranch_execz .LBB2_117
; %bb.105:                              ;   in Loop: Header=BB2_57 Depth=2
	s_mov_b32 s61, exec_lo
	s_mov_b32 s60, exec_lo
	v_mbcnt_lo_u32_b32 v2, s61, 0
	global_wb scope:SCOPE_DEV
	s_wait_storecnt 0x0
	s_wait_loadcnt_dscnt 0x0
	global_inv scope:SCOPE_DEV
	v_cmpx_eq_u32_e32 0, v2
	s_cbranch_execz .LBB2_107
; %bb.106:                              ;   in Loop: Header=BB2_57 Depth=2
	s_bcnt1_i32_b32 s61, s61
	s_delay_alu instid0(SALU_CYCLE_1)
	v_mov_b32_e32 v2, s61
	s_wait_loadcnt 0x0
	ds_add_u64 v0, v[2:3]
	s_trap 2
.LBB2_107:                              ;   in Loop: Header=BB2_57 Depth=2
	s_or_b32 exec_lo, exec_lo, s60
	s_trap 2
	ds_load_b64 v[102:103], v0
	s_wait_dscnt 0x0
	v_add_nc_u64_e32 v[12:13], v[12:13], v[32:33]
	s_mov_b32 s60, exec_lo
	s_delay_alu instid0(VALU_DEP_1)
	v_cmpx_lt_u64_e64 v[102:103], v[12:13]
	s_cbranch_execz .LBB2_116
; %bb.108:                              ;   in Loop: Header=BB2_57 Depth=2
	s_mov_b32 s61, 0
	s_mov_b32 s72, 0
                                        ; implicit-def: $sgpr62
                                        ; implicit-def: $sgpr63
	s_branch .LBB2_110
.LBB2_109:                              ;   in Loop: Header=BB2_110 Depth=3
	s_or_b32 exec_lo, exec_lo, s74
	s_delay_alu instid0(SALU_CYCLE_1) | instskip(NEXT) | instid1(SALU_CYCLE_1)
	s_and_b32 s73, exec_lo, s75
	s_or_b32 s61, s73, s61
	s_and_not1_b32 s62, s62, exec_lo
	s_and_b32 s73, s63, exec_lo
	s_delay_alu instid0(SALU_CYCLE_1)
	s_or_b32 s62, s62, s73
	s_and_not1_b32 exec_lo, exec_lo, s61
	s_cbranch_execz .LBB2_114
.LBB2_110:                              ;   Parent Loop BB2_47 Depth=1
                                        ;     Parent Loop BB2_57 Depth=2
                                        ; =>    This Inner Loop Header: Depth=3
	s_add_co_i32 s72, s72, 1
	s_delay_alu instid0(SALU_CYCLE_1) | instskip(SKIP_1) | instid1(SALU_CYCLE_1)
	s_cmp_lg_u32 s72, 0x2710
	s_cselect_b32 s73, -1, 0
	s_and_b32 vcc_lo, exec_lo, s73
	s_cbranch_vccz .LBB2_112
; %bb.111:                              ;   in Loop: Header=BB2_110 Depth=3
	s_mov_b32 s75, -1
	s_or_b32 s63, s63, exec_lo
	s_and_saveexec_b32 s74, s73
	s_cbranch_execz .LBB2_109
	s_branch .LBB2_113
.LBB2_112:                              ;   in Loop: Header=BB2_110 Depth=3
	s_trap 2
	ds_load_b64 v[102:103], v0
	s_and_not1_b32 s73, s73, exec_lo
	s_mov_b32 s72, 0
	s_wait_loadcnt_dscnt 0x0
	flat_load_b32 v2, v[102:103] scope:SCOPE_SYS
	s_wait_loadcnt_dscnt 0x0
	global_inv scope:SCOPE_SYS
	v_cmp_eq_u32_e32 vcc_lo, 0, v2
	s_and_b32 s74, vcc_lo, exec_lo
	s_delay_alu instid0(SALU_CYCLE_1)
	s_or_b32 s73, s73, s74
	s_mov_b32 s75, -1
	s_or_b32 s63, s63, exec_lo
	s_and_saveexec_b32 s74, s73
	s_cbranch_execz .LBB2_109
.LBB2_113:                              ;   in Loop: Header=BB2_110 Depth=3
	s_sleep 1
	s_trap 2
	ds_load_b64 v[102:103], v0
	s_wait_dscnt 0x0
	s_and_not1_b32 s63, s63, exec_lo
	v_cmp_ge_u64_e32 vcc_lo, v[102:103], v[12:13]
	s_or_not1_b32 s75, vcc_lo, exec_lo
	s_branch .LBB2_109
.LBB2_114:                              ;   in Loop: Header=BB2_57 Depth=2
	s_or_b32 exec_lo, exec_lo, s61
	s_and_saveexec_b32 s61, s62
	s_delay_alu instid0(SALU_CYCLE_1)
	s_xor_b32 s61, exec_lo, s61
	s_cbranch_execz .LBB2_116
; %bb.115:                              ;   in Loop: Header=BB2_57 Depth=2
	ds_store_b32 v0, v57
	s_trap 2
.LBB2_116:                              ;   in Loop: Header=BB2_57 Depth=2
	s_or_b32 exec_lo, exec_lo, s60
	;;#ASMSTART
	s_wakeup
	;;#ASMEND
.LBB2_117:                              ;   in Loop: Header=BB2_57 Depth=2
	s_or_b32 exec_lo, exec_lo, s41
.LBB2_118:                              ;   in Loop: Header=BB2_57 Depth=2
	s_and_not1_saveexec_b32 s40, s40
	s_cbranch_execz .LBB2_120
; %bb.119:                              ;   in Loop: Header=BB2_57 Depth=2
	global_wb scope:SCOPE_DEV
	s_wait_storecnt 0x0
	s_wait_loadcnt_dscnt 0x0
	global_inv scope:SCOPE_DEV
	s_barrier_signal -1
	s_barrier_wait -1
.LBB2_120:                              ;   in Loop: Header=BB2_57 Depth=2
	s_or_b32 exec_lo, exec_lo, s40
.LBB2_121:                              ;   in Loop: Header=BB2_57 Depth=2
	s_delay_alu instid0(SALU_CYCLE_1)
	s_or_b32 exec_lo, exec_lo, s13
	s_trap 2
	ds_load_b64 v[102:103], v0
	s_wait_dscnt 0x0
	v_cmp_eq_u64_e32 vcc_lo, 0, v[102:103]
	s_cbranch_vccnz .LBB2_129
; %bb.122:                              ;   in Loop: Header=BB2_57 Depth=2
	s_trap 2
	ds_load_b64 v[112:113], v0
	s_wait_dscnt 0x0
	v_cmp_eq_u64_e32 vcc_lo, 0, v[112:113]
	s_cbranch_vccnz .LBB2_129
; %bb.123:                              ;   in Loop: Header=BB2_57 Depth=2
	s_mov_b32 s13, -1
	s_and_saveexec_b32 s40, s10
	s_cbranch_execz .LBB2_125
; %bb.124:                              ;   in Loop: Header=BB2_57 Depth=2
	ds_load_b32 v2, v0 offset:720
	s_wait_dscnt 0x0
	v_and_b32_e32 v2, 15, v2
	s_delay_alu instid0(VALU_DEP_1)
	v_cmp_eq_u32_e32 vcc_lo, 0, v2
	s_or_not1_b32 s13, vcc_lo, exec_lo
.LBB2_125:                              ;   in Loop: Header=BB2_57 Depth=2
	s_or_b32 exec_lo, exec_lo, s40
	s_and_saveexec_b32 s40, s11
	s_cbranch_execz .LBB2_127
; %bb.126:                              ;   in Loop: Header=BB2_57 Depth=2
	ds_load_b32 v2, v0 offset:784
	s_wait_dscnt 0x0
	v_and_b32_e32 v2, 15, v2
	s_delay_alu instid0(VALU_DEP_1) | instskip(SKIP_3) | instid1(SALU_CYCLE_1)
	v_cmp_eq_u32_e32 vcc_lo, 0, v2
	s_and_b32 s41, s13, vcc_lo
	s_and_not1_b32 s13, s13, exec_lo
	s_and_b32 s41, s41, exec_lo
	s_or_b32 s13, s13, s41
.LBB2_127:                              ;   in Loop: Header=BB2_57 Depth=2
	s_or_b32 exec_lo, exec_lo, s40
	v_cmp_eq_u32_e32 vcc_lo, 0, v9
	s_xor_b32 s13, s13, -1
	s_mov_b32 s41, -1
	v_cndmask_b32_e64 v11, 0, 1, s13
	v_cndmask_b32_e32 v2, 0, v8, vcc_lo
	s_delay_alu instid0(VALU_DEP_2) | instskip(NEXT) | instid1(VALU_DEP_2)
	v_cmp_ne_u32_e32 vcc_lo, 0, v11
	v_dual_mov_b32 v11, 0 :: v_dual_lshlrev_b32 v9, 2, v2
	s_cbranch_vccz .LBB2_130
; %bb.128:                              ;   in Loop: Header=BB2_57 Depth=2
	v_dual_mov_b32 v117, v0 :: v_dual_mov_b32 v114, v60
	s_and_saveexec_b32 s13, s41
	s_cbranch_execnz .LBB2_143
	s_branch .LBB2_151
.LBB2_129:                              ;   in Loop: Header=BB2_57 Depth=2
	s_mov_b32 s13, 0
	s_and_saveexec_b32 s40, s2
	s_cbranch_execnz .LBB2_152
	s_branch .LBB2_170
.LBB2_130:                              ;   in Loop: Header=BB2_57 Depth=2
	s_delay_alu instid0(VALU_DEP_1) | instskip(SKIP_1) | instid1(VALU_DEP_1)
	v_ashrrev_i32_e32 v11, 31, v9
	s_mov_b32 s13, exec_lo
	v_lshrrev_b32_e32 v11, 22, v11
	s_delay_alu instid0(VALU_DEP_1) | instskip(NEXT) | instid1(VALU_DEP_1)
	v_add_nc_u32_e32 v11, v9, v11
	v_ashrrev_i32_e32 v11, 10, v11
	s_delay_alu instid0(VALU_DEP_1) | instskip(NEXT) | instid1(VALU_DEP_1)
	v_sub_nc_u32_e32 v119, v11, v60
	v_cmpx_lt_i32_e32 0, v119
	s_cbranch_execz .LBB2_134
; %bb.131:                              ;   in Loop: Header=BB2_57 Depth=2
	v_mov_b64_e32 v[114:115], v[82:83]
	s_mov_b32 s40, 0
.LBB2_132:                              ;   Parent Loop BB2_47 Depth=1
                                        ;     Parent Loop BB2_57 Depth=2
                                        ; =>    This Inner Loop Header: Depth=3
	s_delay_alu instid0(VALU_DEP_1)
	v_add_nc_u64_e32 v[44:45], v[102:103], v[114:115]
	v_sub_nc_u32_e32 v119, v119, v32
	v_add_nc_u64_e32 v[72:73], v[112:113], v[114:115]
	v_add_nc_u64_e32 v[114:115], v[114:115], v[50:51]
	s_clause 0x1
	global_load_b128 v[40:43], v[44:45], off th:TH_LOAD_NT
	global_load_b128 v[44:47], v[44:45], off offset:512 th:TH_LOAD_NT
	v_cmp_gt_i32_e32 vcc_lo, 1, v119
	s_wait_loadcnt 0x1
	global_store_b128 v[72:73], v[40:43], off th:TH_STORE_NT
	s_wait_loadcnt 0x0
	global_store_b128 v[72:73], v[44:47], off offset:512 th:TH_STORE_NT
	s_or_b32 s40, vcc_lo, s40
	s_wait_xcnt 0x0
	s_and_not1_b32 exec_lo, exec_lo, s40
	s_cbranch_execnz .LBB2_132
; %bb.133:                              ;   in Loop: Header=BB2_57 Depth=2
	s_or_b32 exec_lo, exec_lo, s40
.LBB2_134:                              ;   in Loop: Header=BB2_57 Depth=2
	s_delay_alu instid0(SALU_CYCLE_1) | instskip(SKIP_3) | instid1(VALU_DEP_1)
	s_or_b32 exec_lo, exec_lo, s13
	v_dual_mov_b32 v11, 0 :: v_dual_lshlrev_b32 v118, 10, v11
	s_mov_b32 s41, 0
	s_mov_b32 s40, exec_lo
                                        ; implicit-def: $vgpr117
                                        ; implicit-def: $vgpr114
	v_cmpx_ne_u32_e64 v9, v118
	s_cbranch_execz .LBB2_142
; %bb.135:                              ;   in Loop: Header=BB2_57 Depth=2
	v_dual_lshlrev_b32 v11, 5, v119 :: v_dual_sub_nc_u32 v115, v9, v118
	s_mov_b32 s41, exec_lo
	s_delay_alu instid0(VALU_DEP_1) | instskip(NEXT) | instid1(VALU_DEP_2)
	v_sub_nc_u32_e32 v11, v61, v11
	v_ashrrev_i32_e32 v117, 31, v115
	s_delay_alu instid0(VALU_DEP_1) | instskip(NEXT) | instid1(VALU_DEP_1)
	v_dual_ashrrev_i32 v114, 31, v11 :: v_dual_lshrrev_b32 v117, 23, v117
	v_lshrrev_b32_e32 v114, 27, v114
	s_delay_alu instid0(VALU_DEP_1) | instskip(NEXT) | instid1(VALU_DEP_1)
	v_add_nc_u32_e32 v114, v11, v114
	v_dual_add_nc_u32 v117, v115, v117 :: v_dual_ashrrev_i32 v42, 5, v114
	v_and_b32_e32 v119, 0xffffffe0, v114
	s_delay_alu instid0(VALU_DEP_1) | instskip(NEXT) | instid1(VALU_DEP_3)
	v_sub_nc_u32_e32 v40, v11, v119
	v_and_b32_e32 v119, 0xfffffe00, v117
	s_delay_alu instid0(VALU_DEP_2) | instskip(NEXT) | instid1(VALU_DEP_2)
	v_dual_ashrrev_i32 v117, 9, v117 :: v_dual_lshlrev_b32 v11, 4, v40
	v_sub_nc_u32_e32 v41, v115, v119
	s_delay_alu instid0(VALU_DEP_2) | instskip(NEXT) | instid1(VALU_DEP_2)
	v_lshl_add_u32 v114, v42, 9, v11
	v_cmp_lt_i32_e32 vcc_lo, 15, v41
	s_delay_alu instid0(VALU_DEP_2) | instskip(SKIP_1) | instid1(VALU_DEP_1)
	v_sub_nc_u32_e32 v11, v115, v114
	v_add_co_ci_u32_e64 v117, null, 0, v117, vcc_lo
	v_sub_nc_u32_e32 v42, v117, v42
	s_delay_alu instid0(VALU_DEP_3)
	v_cmpx_lt_i32_e32 15, v11
	s_cbranch_execz .LBB2_139
; %bb.136:                              ;   in Loop: Header=BB2_57 Depth=2
	v_add_nc_u32_e32 v114, v114, v118
	s_mov_b32 s60, 0
	s_delay_alu instid0(VALU_DEP_1)
	v_ashrrev_i32_e32 v115, 31, v114
.LBB2_137:                              ;   Parent Loop BB2_47 Depth=1
                                        ;     Parent Loop BB2_57 Depth=2
                                        ; =>    This Inner Loop Header: Depth=3
	s_delay_alu instid0(VALU_DEP_1) | instskip(SKIP_4) | instid1(VALU_DEP_4)
	v_add_nc_u64_e32 v[44:45], v[102:103], v[114:115]
	v_sub_nc_u32_e32 v11, v11, v52
	v_add_nc_u64_e32 v[72:73], v[112:113], v[114:115]
	v_add_nc_u64_e32 v[114:115], v[114:115], v[52:53]
	v_sub_nc_u32_e32 v42, v42, v32
	v_cmp_gt_i32_e64 s13, 16, v11
	global_load_b128 v[44:47], v[44:45], off th:TH_LOAD_NT
	s_or_b32 s60, s13, s60
	s_wait_loadcnt 0x0
	global_store_b128 v[72:73], v[44:47], off th:TH_STORE_NT
	s_wait_xcnt 0x0
	s_and_not1_b32 exec_lo, exec_lo, s60
	s_cbranch_execnz .LBB2_137
; %bb.138:                              ;   in Loop: Header=BB2_57 Depth=2
	s_or_b32 exec_lo, exec_lo, s60
.LBB2_139:                              ;   in Loop: Header=BB2_57 Depth=2
	s_delay_alu instid0(SALU_CYCLE_1) | instskip(SKIP_3) | instid1(VALU_DEP_1)
	s_or_b32 exec_lo, exec_lo, s41
	v_dual_mov_b32 v11, 0 :: v_dual_bitop2_b32 v115, 12, v9 bitop3:0x40
	s_mov_b32 s41, 0
	s_mov_b32 s60, exec_lo
                                        ; implicit-def: $vgpr117
                                        ; implicit-def: $vgpr114
	v_cndmask_b32_e32 v9, v41, v115, vcc_lo
	s_delay_alu instid0(VALU_DEP_1)
	v_cmpx_ne_u32_e32 0, v9
	s_cbranch_execz .LBB2_141
; %bb.140:                              ;   in Loop: Header=BB2_57 Depth=2
	v_cmp_lt_i32_e64 s13, 0, v42
	s_mov_b32 s41, exec_lo
	v_dual_sub_nc_u32 v114, v41, v115 :: v_dual_cndmask_b32 v11, 0, v32, s13
	s_delay_alu instid0(VALU_DEP_1) | instskip(NEXT) | instid1(VALU_DEP_2)
	v_cndmask_b32_e32 v114, 0, v114, vcc_lo
	v_sub_nc_u32_e32 v11, v11, v42
	s_delay_alu instid0(VALU_DEP_1) | instskip(NEXT) | instid1(VALU_DEP_1)
	v_lshl_add_u32 v117, v11, 5, v40
	v_ashrrev_i32_e32 v11, 31, v117
	s_delay_alu instid0(VALU_DEP_1) | instskip(NEXT) | instid1(VALU_DEP_1)
	v_lshrrev_b32_e32 v11, 27, v11
	v_add_nc_u32_e32 v115, v117, v11
	v_add3_u32 v11, v119, v118, v114
	s_delay_alu instid0(VALU_DEP_2)
	v_ashrrev_i32_e32 v114, 5, v115
.LBB2_141:                              ;   in Loop: Header=BB2_57 Depth=2
	s_or_b32 exec_lo, exec_lo, s60
	s_delay_alu instid0(SALU_CYCLE_1)
	s_and_b32 s41, s41, exec_lo
.LBB2_142:                              ;   in Loop: Header=BB2_57 Depth=2
	s_or_b32 exec_lo, exec_lo, s40
	s_and_saveexec_b32 s13, s41
	s_cbranch_execz .LBB2_151
.LBB2_143:                              ;   in Loop: Header=BB2_57 Depth=2
	v_ashrrev_i32_e32 v115, 31, v9
	s_mov_b32 s40, exec_lo
	s_delay_alu instid0(VALU_DEP_1) | instskip(NEXT) | instid1(VALU_DEP_1)
	v_lshrrev_b32_e32 v115, 24, v115
	v_add_nc_u32_e32 v115, v9, v115
	s_delay_alu instid0(VALU_DEP_1) | instskip(NEXT) | instid1(VALU_DEP_1)
	v_dual_ashrrev_i32 v40, 8, v115 :: v_dual_ashrrev_i32 v115, 31, v117
	v_dual_sub_nc_u32 v118, v40, v114 :: v_dual_lshrrev_b32 v119, 27, v115
	s_delay_alu instid0(VALU_DEP_1)
	v_cmpx_lt_i32_e32 0, v118
	s_cbranch_execz .LBB2_147
; %bb.144:                              ;   in Loop: Header=BB2_57 Depth=2
	s_delay_alu instid0(VALU_DEP_2) | instskip(SKIP_1) | instid1(VALU_DEP_1)
	v_dual_add_nc_u32 v115, v117, v119 :: v_dual_lshlrev_b32 v114, 8, v114
	s_mov_b32 s41, 0
	v_and_b32_e32 v115, 0x3fffffe0, v115
	s_delay_alu instid0(VALU_DEP_1) | instskip(NEXT) | instid1(VALU_DEP_1)
	v_sub_nc_u32_e32 v115, v117, v115
	v_lshlrev_b32_e32 v115, 2, v115
	s_delay_alu instid0(VALU_DEP_1) | instskip(NEXT) | instid1(VALU_DEP_1)
	v_add3_u32 v114, v115, v11, v114
	v_ashrrev_i32_e32 v115, 31, v114
.LBB2_145:                              ;   Parent Loop BB2_47 Depth=1
                                        ;     Parent Loop BB2_57 Depth=2
                                        ; =>    This Inner Loop Header: Depth=3
	s_delay_alu instid0(VALU_DEP_1)
	v_add_nc_u64_e32 v[42:43], v[102:103], v[114:115]
	v_sub_nc_u32_e32 v118, v118, v32
	s_clause 0x1
	flat_load_b32 v41, v[42:43] th:TH_LOAD_NT
	flat_load_b32 v44, v[42:43] offset:128 th:TH_LOAD_NT
	s_wait_xcnt 0x0
	v_add_nc_u64_e32 v[42:43], v[112:113], v[114:115]
	v_cmp_gt_i32_e32 vcc_lo, 1, v118
	v_add_nc_u64_e32 v[114:115], v[114:115], v[54:55]
	s_wait_loadcnt_dscnt 0x101
	flat_store_b32 v[42:43], v41 th:TH_STORE_NT
	s_wait_loadcnt_dscnt 0x1
	flat_store_b32 v[42:43], v44 offset:128 th:TH_STORE_NT
	s_or_b32 s41, vcc_lo, s41
	s_wait_xcnt 0x0
	s_and_not1_b32 exec_lo, exec_lo, s41
	s_cbranch_execnz .LBB2_145
; %bb.146:                              ;   in Loop: Header=BB2_57 Depth=2
	s_or_b32 exec_lo, exec_lo, s41
.LBB2_147:                              ;   in Loop: Header=BB2_57 Depth=2
	s_delay_alu instid0(SALU_CYCLE_1) | instskip(SKIP_1) | instid1(VALU_DEP_1)
	s_or_b32 exec_lo, exec_lo, s40
	v_lshlrev_b32_e32 v114, 8, v40
	v_cmp_ne_u32_e32 vcc_lo, v9, v114
	s_and_b32 exec_lo, exec_lo, vcc_lo
	s_cbranch_execz .LBB2_151
; %bb.148:                              ;   in Loop: Header=BB2_57 Depth=2
	v_add_nc_u32_e32 v115, v117, v119
	s_delay_alu instid0(VALU_DEP_1) | instskip(NEXT) | instid1(VALU_DEP_1)
	v_and_b32_e32 v115, 0xffffffe0, v115
	v_dual_sub_nc_u32 v115, v117, v115 :: v_dual_lshlrev_b32 v117, 5, v118
	s_delay_alu instid0(VALU_DEP_1) | instskip(NEXT) | instid1(VALU_DEP_1)
	v_sub_nc_u32_e32 v115, v115, v117
	v_ashrrev_i32_e32 v117, 31, v115
	s_delay_alu instid0(VALU_DEP_1) | instskip(NEXT) | instid1(VALU_DEP_1)
	v_lshrrev_b32_e32 v117, 27, v117
	v_add_nc_u32_e32 v117, v115, v117
	s_delay_alu instid0(VALU_DEP_1) | instskip(NEXT) | instid1(VALU_DEP_1)
	v_and_b32_e32 v118, 0x3fffffe0, v117
	v_dual_lshlrev_b32 v117, 2, v117 :: v_dual_sub_nc_u32 v115, v115, v118
	s_delay_alu instid0(VALU_DEP_1) | instskip(NEXT) | instid1(VALU_DEP_2)
	v_and_b32_e32 v117, 0xffffff80, v117
	v_lshlrev_b32_e32 v115, 2, v115
	s_delay_alu instid0(VALU_DEP_1) | instskip(NEXT) | instid1(VALU_DEP_1)
	v_add3_u32 v114, v117, v115, v114
	v_sub_nc_u32_e32 v9, v9, v114
	s_delay_alu instid0(VALU_DEP_1)
	v_cmp_lt_i32_e32 vcc_lo, 3, v9
	s_and_b32 exec_lo, exec_lo, vcc_lo
	s_cbranch_execz .LBB2_151
; %bb.149:                              ;   in Loop: Header=BB2_57 Depth=2
	v_add_nc_u32_e32 v114, v114, v11
	s_mov_b32 s40, 0
	s_delay_alu instid0(VALU_DEP_1)
	v_ashrrev_i32_e32 v115, 31, v114
.LBB2_150:                              ;   Parent Loop BB2_47 Depth=1
                                        ;     Parent Loop BB2_57 Depth=2
                                        ; =>    This Inner Loop Header: Depth=3
	s_delay_alu instid0(VALU_DEP_1) | instskip(SKIP_1) | instid1(VALU_DEP_1)
	v_add_nc_u64_e32 v[118:119], v[102:103], v[114:115]
	v_sub_nc_u32_e32 v9, v9, v64
	v_cmp_gt_i32_e32 vcc_lo, 4, v9
	flat_load_b32 v11, v[118:119] th:TH_LOAD_NT
	s_wait_xcnt 0x0
	v_add_nc_u64_e32 v[118:119], v[112:113], v[114:115]
	v_add_nc_u64_e32 v[114:115], v[114:115], v[64:65]
	s_or_b32 s40, vcc_lo, s40
	s_wait_loadcnt_dscnt 0x0
	flat_store_b32 v[118:119], v11 th:TH_STORE_NT
	s_wait_xcnt 0x0
	s_and_not1_b32 exec_lo, exec_lo, s40
	s_cbranch_execnz .LBB2_150
.LBB2_151:                              ;   in Loop: Header=BB2_57 Depth=2
	s_or_b32 exec_lo, exec_lo, s13
	v_cmp_lt_i32_e64 s13, 0, v2
	s_and_saveexec_b32 s40, s2
	s_cbranch_execz .LBB2_170
.LBB2_152:                              ;   in Loop: Header=BB2_57 Depth=2
	s_and_saveexec_b32 s41, s3
	s_delay_alu instid0(SALU_CYCLE_1)
	s_xor_b32 s41, exec_lo, s41
	s_cbranch_execz .LBB2_167
; %bb.153:                              ;   in Loop: Header=BB2_57 Depth=2
	s_and_saveexec_b32 s60, s6
	s_cbranch_execz .LBB2_166
; %bb.154:                              ;   in Loop: Header=BB2_57 Depth=2
	s_mov_b32 s62, exec_lo
	s_mov_b32 s61, exec_lo
	v_mbcnt_lo_u32_b32 v2, s62, 0
	global_wb scope:SCOPE_DEV
	s_wait_storecnt 0x0
	s_wait_loadcnt_dscnt 0x0
	global_inv scope:SCOPE_DEV
	v_cmpx_eq_u32_e32 0, v2
	s_cbranch_execz .LBB2_156
; %bb.155:                              ;   in Loop: Header=BB2_57 Depth=2
	s_bcnt1_i32_b32 s62, s62
	s_delay_alu instid0(SALU_CYCLE_1)
	v_mov_b32_e32 v2, s62
	s_wait_loadcnt 0x0
	ds_add_u64 v0, v[2:3]
	s_trap 2
.LBB2_156:                              ;   in Loop: Header=BB2_57 Depth=2
	s_or_b32 exec_lo, exec_lo, s61
	s_trap 2
	ds_load_b64 v[102:103], v0
	s_wait_dscnt 0x0
	v_add_nc_u64_e32 v[12:13], v[12:13], v[32:33]
	s_mov_b32 s61, exec_lo
	s_delay_alu instid0(VALU_DEP_1)
	v_cmpx_lt_u64_e64 v[102:103], v[12:13]
	s_cbranch_execz .LBB2_165
; %bb.157:                              ;   in Loop: Header=BB2_57 Depth=2
	s_mov_b32 s62, 0
	s_mov_b32 s73, 0
                                        ; implicit-def: $sgpr63
                                        ; implicit-def: $sgpr72
	s_branch .LBB2_159
.LBB2_158:                              ;   in Loop: Header=BB2_159 Depth=3
	s_or_b32 exec_lo, exec_lo, s75
	s_delay_alu instid0(SALU_CYCLE_1) | instskip(NEXT) | instid1(SALU_CYCLE_1)
	s_and_b32 s74, exec_lo, s76
	s_or_b32 s62, s74, s62
	s_and_not1_b32 s63, s63, exec_lo
	s_and_b32 s74, s72, exec_lo
	s_delay_alu instid0(SALU_CYCLE_1)
	s_or_b32 s63, s63, s74
	s_and_not1_b32 exec_lo, exec_lo, s62
	s_cbranch_execz .LBB2_163
.LBB2_159:                              ;   Parent Loop BB2_47 Depth=1
                                        ;     Parent Loop BB2_57 Depth=2
                                        ; =>    This Inner Loop Header: Depth=3
	s_add_co_i32 s73, s73, 1
	s_delay_alu instid0(SALU_CYCLE_1) | instskip(SKIP_1) | instid1(SALU_CYCLE_1)
	s_cmp_lg_u32 s73, 0x2710
	s_cselect_b32 s74, -1, 0
	s_and_b32 vcc_lo, exec_lo, s74
	s_cbranch_vccz .LBB2_161
; %bb.160:                              ;   in Loop: Header=BB2_159 Depth=3
	s_mov_b32 s76, -1
	s_or_b32 s72, s72, exec_lo
	s_and_saveexec_b32 s75, s74
	s_cbranch_execz .LBB2_158
	s_branch .LBB2_162
.LBB2_161:                              ;   in Loop: Header=BB2_159 Depth=3
	s_trap 2
	ds_load_b64 v[102:103], v0
	s_and_not1_b32 s74, s74, exec_lo
	s_mov_b32 s73, 0
	s_wait_loadcnt_dscnt 0x0
	flat_load_b32 v2, v[102:103] scope:SCOPE_SYS
	s_wait_loadcnt_dscnt 0x0
	global_inv scope:SCOPE_SYS
	v_cmp_eq_u32_e32 vcc_lo, 0, v2
	s_and_b32 s75, vcc_lo, exec_lo
	s_delay_alu instid0(SALU_CYCLE_1)
	s_or_b32 s74, s74, s75
	s_mov_b32 s76, -1
	s_or_b32 s72, s72, exec_lo
	s_and_saveexec_b32 s75, s74
	s_cbranch_execz .LBB2_158
.LBB2_162:                              ;   in Loop: Header=BB2_159 Depth=3
	s_sleep 1
	s_trap 2
	ds_load_b64 v[102:103], v0
	s_wait_dscnt 0x0
	s_and_not1_b32 s72, s72, exec_lo
	v_cmp_ge_u64_e32 vcc_lo, v[102:103], v[12:13]
	s_or_not1_b32 s76, vcc_lo, exec_lo
	s_branch .LBB2_158
.LBB2_163:                              ;   in Loop: Header=BB2_57 Depth=2
	s_or_b32 exec_lo, exec_lo, s62
	s_and_saveexec_b32 s62, s63
	s_delay_alu instid0(SALU_CYCLE_1)
	s_xor_b32 s62, exec_lo, s62
	s_cbranch_execz .LBB2_165
; %bb.164:                              ;   in Loop: Header=BB2_57 Depth=2
	ds_store_b32 v0, v57
	s_trap 2
.LBB2_165:                              ;   in Loop: Header=BB2_57 Depth=2
	s_or_b32 exec_lo, exec_lo, s61
	;;#ASMSTART
	s_wakeup
	;;#ASMEND
.LBB2_166:                              ;   in Loop: Header=BB2_57 Depth=2
	s_or_b32 exec_lo, exec_lo, s60
.LBB2_167:                              ;   in Loop: Header=BB2_57 Depth=2
	s_and_not1_saveexec_b32 s41, s41
	s_cbranch_execz .LBB2_169
; %bb.168:                              ;   in Loop: Header=BB2_57 Depth=2
	global_wb scope:SCOPE_DEV
	s_wait_storecnt 0x0
	s_wait_loadcnt_dscnt 0x0
	global_inv scope:SCOPE_DEV
	s_barrier_signal -1
	s_barrier_wait -1
.LBB2_169:                              ;   in Loop: Header=BB2_57 Depth=2
	s_or_b32 exec_lo, exec_lo, s41
.LBB2_170:                              ;   in Loop: Header=BB2_57 Depth=2
	s_delay_alu instid0(SALU_CYCLE_1) | instskip(SKIP_2) | instid1(SALU_CYCLE_1)
	s_or_b32 exec_lo, exec_lo, s40
	v_and_b32_e32 v9, 16, v30
	s_and_saveexec_b32 s40, s7
	s_xor_b32 s40, exec_lo, s40
	s_cbranch_execz .LBB2_174
; %bb.171:                              ;   in Loop: Header=BB2_57 Depth=2
	v_and_b32_e32 v2, 16, v30
	v_and_b32_e32 v9, 16, v30
	s_delay_alu instid0(VALU_DEP_2) | instskip(SKIP_1) | instid1(SALU_CYCLE_1)
	v_cmp_ne_u32_e32 vcc_lo, 0, v2
	s_and_b32 s41, vcc_lo, s13
	s_and_saveexec_b32 s13, s41
	s_cbranch_execz .LBB2_173
; %bb.172:                              ;   in Loop: Header=BB2_57 Depth=2
	v_mov_b32_e32 v9, 1
	global_wb scope:SCOPE_SYS
	s_wait_storecnt 0x0
	s_wait_loadcnt_dscnt 0x0
	global_inv scope:SCOPE_SYS
.LBB2_173:                              ;   in Loop: Header=BB2_57 Depth=2
	s_or_b32 exec_lo, exec_lo, s13
.LBB2_174:                              ;   in Loop: Header=BB2_57 Depth=2
	s_and_not1_saveexec_b32 s13, s40
	s_cbranch_execz .LBB2_193
; %bb.175:                              ;   in Loop: Header=BB2_57 Depth=2
	s_and_saveexec_b32 s40, s3
	s_delay_alu instid0(SALU_CYCLE_1)
	s_xor_b32 s40, exec_lo, s40
	s_cbranch_execz .LBB2_190
; %bb.176:                              ;   in Loop: Header=BB2_57 Depth=2
	s_and_saveexec_b32 s41, s6
	s_cbranch_execz .LBB2_189
; %bb.177:                              ;   in Loop: Header=BB2_57 Depth=2
	s_mov_b32 s61, exec_lo
	s_mov_b32 s60, exec_lo
	v_mbcnt_lo_u32_b32 v2, s61, 0
	;;#ASMSTART
	s_waitcnt lgkmcnt(0) vmcnt(0)
	;;#ASMEND
	s_delay_alu instid0(VALU_DEP_1)
	v_cmpx_eq_u32_e32 0, v2
	s_cbranch_execz .LBB2_179
; %bb.178:                              ;   in Loop: Header=BB2_57 Depth=2
	s_bcnt1_i32_b32 s61, s61
	s_delay_alu instid0(SALU_CYCLE_1)
	v_mov_b32_e32 v2, s61
	s_wait_storecnt 0x0
	s_wait_loadcnt_dscnt 0x0
	ds_add_u64 v0, v[2:3]
	s_trap 2
.LBB2_179:                              ;   in Loop: Header=BB2_57 Depth=2
	s_or_b32 exec_lo, exec_lo, s60
	s_trap 2
	ds_load_b64 v[102:103], v0
	s_wait_dscnt 0x0
	v_add_nc_u64_e32 v[12:13], v[12:13], v[32:33]
	s_mov_b32 s60, exec_lo
	s_delay_alu instid0(VALU_DEP_1)
	v_cmpx_lt_u64_e64 v[102:103], v[12:13]
	s_cbranch_execz .LBB2_188
; %bb.180:                              ;   in Loop: Header=BB2_57 Depth=2
	s_mov_b32 s61, 0
	s_mov_b32 s72, 0
                                        ; implicit-def: $sgpr62
                                        ; implicit-def: $sgpr63
	s_branch .LBB2_182
.LBB2_181:                              ;   in Loop: Header=BB2_182 Depth=3
	s_or_b32 exec_lo, exec_lo, s74
	s_delay_alu instid0(SALU_CYCLE_1) | instskip(NEXT) | instid1(SALU_CYCLE_1)
	s_and_b32 s73, exec_lo, s75
	s_or_b32 s61, s73, s61
	s_and_not1_b32 s62, s62, exec_lo
	s_and_b32 s73, s63, exec_lo
	s_delay_alu instid0(SALU_CYCLE_1)
	s_or_b32 s62, s62, s73
	s_and_not1_b32 exec_lo, exec_lo, s61
	s_cbranch_execz .LBB2_186
.LBB2_182:                              ;   Parent Loop BB2_47 Depth=1
                                        ;     Parent Loop BB2_57 Depth=2
                                        ; =>    This Inner Loop Header: Depth=3
	s_add_co_i32 s72, s72, 1
	s_delay_alu instid0(SALU_CYCLE_1) | instskip(SKIP_1) | instid1(SALU_CYCLE_1)
	s_cmp_lg_u32 s72, 0x2710
	s_cselect_b32 s73, -1, 0
	s_and_b32 vcc_lo, exec_lo, s73
	s_cbranch_vccz .LBB2_184
; %bb.183:                              ;   in Loop: Header=BB2_182 Depth=3
	s_mov_b32 s75, -1
	s_or_b32 s63, s63, exec_lo
	s_and_saveexec_b32 s74, s73
	s_cbranch_execz .LBB2_181
	s_branch .LBB2_185
.LBB2_184:                              ;   in Loop: Header=BB2_182 Depth=3
	s_trap 2
	ds_load_b64 v[102:103], v0
	s_and_not1_b32 s73, s73, exec_lo
	s_mov_b32 s72, 0
	s_wait_storecnt 0x0
	s_wait_loadcnt_dscnt 0x0
	flat_load_b32 v2, v[102:103] scope:SCOPE_SYS
	s_wait_loadcnt_dscnt 0x0
	global_inv scope:SCOPE_SYS
	v_cmp_eq_u32_e32 vcc_lo, 0, v2
	s_and_b32 s74, vcc_lo, exec_lo
	s_delay_alu instid0(SALU_CYCLE_1)
	s_or_b32 s73, s73, s74
	s_mov_b32 s75, -1
	s_or_b32 s63, s63, exec_lo
	s_and_saveexec_b32 s74, s73
	s_cbranch_execz .LBB2_181
.LBB2_185:                              ;   in Loop: Header=BB2_182 Depth=3
	s_sleep 1
	s_trap 2
	ds_load_b64 v[102:103], v0
	s_wait_dscnt 0x0
	s_and_not1_b32 s63, s63, exec_lo
	v_cmp_ge_u64_e32 vcc_lo, v[102:103], v[12:13]
	s_or_not1_b32 s75, vcc_lo, exec_lo
	s_branch .LBB2_181
.LBB2_186:                              ;   in Loop: Header=BB2_57 Depth=2
	s_or_b32 exec_lo, exec_lo, s61
	s_and_saveexec_b32 s61, s62
	s_delay_alu instid0(SALU_CYCLE_1)
	s_xor_b32 s61, exec_lo, s61
	s_cbranch_execz .LBB2_188
; %bb.187:                              ;   in Loop: Header=BB2_57 Depth=2
	ds_store_b32 v0, v57
	s_trap 2
.LBB2_188:                              ;   in Loop: Header=BB2_57 Depth=2
	s_or_b32 exec_lo, exec_lo, s60
	;;#ASMSTART
	s_wakeup
	;;#ASMEND
.LBB2_189:                              ;   in Loop: Header=BB2_57 Depth=2
	s_or_b32 exec_lo, exec_lo, s41
.LBB2_190:                              ;   in Loop: Header=BB2_57 Depth=2
	s_and_not1_saveexec_b32 s40, s40
	s_cbranch_execz .LBB2_192
; %bb.191:                              ;   in Loop: Header=BB2_57 Depth=2
	;;#ASMSTART
	s_waitcnt lgkmcnt(0) vmcnt(0)
	;;#ASMEND
	s_barrier_signal -1
	s_barrier_wait -1
.LBB2_192:                              ;   in Loop: Header=BB2_57 Depth=2
	s_or_b32 exec_lo, exec_lo, s40
.LBB2_193:                              ;   in Loop: Header=BB2_57 Depth=2
	s_delay_alu instid0(SALU_CYCLE_1) | instskip(NEXT) | instid1(SALU_CYCLE_1)
	s_or_b32 exec_lo, exec_lo, s13
	s_mov_b32 s13, exec_lo
	v_cmpx_ne_u32_e32 0, v9
	s_cbranch_execz .LBB2_56
; %bb.194:                              ;   in Loop: Header=BB2_57 Depth=2
	s_and_saveexec_b32 s40, s5
	s_cbranch_execz .LBB2_55
; %bb.195:                              ;   in Loop: Header=BB2_57 Depth=2
	global_wb scope:SCOPE_SYS
	s_wait_storecnt 0x0
	s_wait_loadcnt_dscnt 0x0
	flat_store_b32 v[26:27], v57 scope:SCOPE_SYS
	s_branch .LBB2_55
.LBB2_196:                              ;   in Loop: Header=BB2_47 Depth=1
	s_or_b32 exec_lo, exec_lo, s15
.LBB2_197:                              ;   in Loop: Header=BB2_47 Depth=1
	s_delay_alu instid0(SALU_CYCLE_1) | instskip(NEXT) | instid1(SALU_CYCLE_1)
	s_or_b32 exec_lo, exec_lo, s14
	s_mov_b32 s14, exec_lo
	v_cmpx_gt_i32_e32 2, v2
	s_cbranch_execz .LBB2_271
; %bb.198:                              ;   in Loop: Header=BB2_47 Depth=1
	v_cmp_eq_u32_e64 s18, 0, v2
	s_mov_b32 s15, 0
	s_branch .LBB2_201
.LBB2_199:                              ;   in Loop: Header=BB2_201 Depth=2
	s_wait_xcnt 0x0
	s_or_b32 exec_lo, exec_lo, s18
	v_add_nc_u64_e32 v[86:87], 2, v[86:87]
	global_wb scope:SCOPE_SYS
	s_wait_storecnt 0x0
	s_wait_loadcnt_dscnt 0x0
	flat_store_b64 v[20:21], v[86:87] scope:SCOPE_SYS
.LBB2_200:                              ;   in Loop: Header=BB2_201 Depth=2
	s_wait_xcnt 0x0
	s_or_b32 exec_lo, exec_lo, s13
	v_add_nc_u32_e32 v10, v8, v10
	s_mov_b32 s18, 0
	s_and_not1_b32 exec_lo, exec_lo, s15
	s_cbranch_execz .LBB2_270
.LBB2_201:                              ;   Parent Loop BB2_47 Depth=1
                                        ; =>  This Loop Header: Depth=2
                                        ;       Child Loop BB2_207 Depth 3
                                        ;       Child Loop BB2_231 Depth 3
	;; [unrolled: 1-line block ×3, first 2 shown]
	s_delay_alu instid0(VALU_DEP_1) | instskip(SKIP_2) | instid1(VALU_DEP_2)
	v_sub_nc_u32_e32 v2, v116, v10
	v_and_b32_e32 v9, 8, v30
	s_mov_b32 s27, exec_lo
	v_min_i32_e32 v8, v8, v2
	s_delay_alu instid0(VALU_DEP_2)
	v_cmpx_ne_u32_e32 0, v9
	s_cbranch_execz .LBB2_223
; %bb.202:                              ;   in Loop: Header=BB2_201 Depth=2
	s_wait_loadcnt_dscnt 0x1
	v_add_nc_u64_e32 v[102:103], 8, v[28:29]
	v_add_nc_u64_e32 v[100:101], 2, v[86:87]
	s_mov_b32 s40, exec_lo
	s_delay_alu instid0(VALU_DEP_1)
	v_cmpx_lt_u64_e64 v[102:103], v[100:101]
	s_cbranch_execz .LBB2_214
; %bb.203:                              ;   in Loop: Header=BB2_201 Depth=2
	v_and_b32_e32 v2, 64, v30
	s_mov_b32 s41, 0
	s_mov_b32 s63, 0
                                        ; implicit-def: $sgpr60
                                        ; implicit-def: $sgpr61
                                        ; implicit-def: $sgpr62
	s_delay_alu instid0(VALU_DEP_1)
	v_cmp_eq_u32_e32 vcc_lo, 0, v2
	s_branch .LBB2_207
.LBB2_204:                              ;   in Loop: Header=BB2_207 Depth=3
	s_wait_loadcnt_dscnt 0x0
	v_add_nc_u64_e32 v[102:103], 8, v[28:29]
	s_or_b32 s74, s74, exec_lo
	s_delay_alu instid0(VALU_DEP_1)
	v_cmp_ge_u64_e64 s13, v[102:103], v[100:101]
	s_or_not1_b32 s73, s13, exec_lo
.LBB2_205:                              ;   in Loop: Header=BB2_207 Depth=3
	s_or_b32 exec_lo, exec_lo, s76
	s_delay_alu instid0(SALU_CYCLE_1)
	s_and_not1_b32 s13, s62, exec_lo
	s_and_b32 s62, s74, exec_lo
	s_and_not1_b32 s61, s61, exec_lo
	s_and_b32 s73, s73, exec_lo
	s_or_b32 s62, s13, s62
	s_or_b32 s61, s61, s73
.LBB2_206:                              ;   in Loop: Header=BB2_207 Depth=3
	s_or_b32 exec_lo, exec_lo, s72
	s_delay_alu instid0(SALU_CYCLE_1) | instskip(NEXT) | instid1(SALU_CYCLE_1)
	s_and_b32 s13, exec_lo, s61
	s_or_b32 s41, s13, s41
	s_and_not1_b32 s13, s60, exec_lo
	s_and_b32 s60, s62, exec_lo
	s_delay_alu instid0(SALU_CYCLE_1)
	s_or_b32 s60, s13, s60
	s_and_not1_b32 exec_lo, exec_lo, s41
	s_cbranch_execz .LBB2_211
.LBB2_207:                              ;   Parent Loop BB2_47 Depth=1
                                        ;     Parent Loop BB2_201 Depth=2
                                        ; =>    This Inner Loop Header: Depth=3
	s_sleep 1
	s_wait_loadcnt_dscnt 0x0
	flat_load_b64 v[28:29], v[20:21] scope:SCOPE_SYS
	s_or_b32 s62, s62, exec_lo
	s_or_b32 s61, s61, exec_lo
                                        ; implicit-def: $vgpr2
	s_wait_xcnt 0x0
	s_and_saveexec_b32 s72, vcc_lo
	s_cbranch_execz .LBB2_206
; %bb.208:                              ;   in Loop: Header=BB2_207 Depth=3
	s_cmp_lt_i32 s63, 0x270f
	s_mov_b32 s73, -1
	s_cselect_b32 s75, -1, 0
	s_cmp_gt_i32 s63, 0x270e
	s_cbranch_scc0 .LBB2_210
; %bb.209:                              ;   in Loop: Header=BB2_207 Depth=3
	s_trap 2
	ds_load_b64 v[102:103], v0
	s_and_not1_b32 s63, s75, exec_lo
	s_mov_b32 s74, 0
	s_wait_storecnt 0x0
	s_wait_loadcnt_dscnt 0x0
	flat_load_b32 v2, v[102:103] scope:SCOPE_SYS
	s_wait_loadcnt_dscnt 0x0
	global_inv scope:SCOPE_SYS
	v_cmp_eq_u32_e64 s13, 0, v2
	s_and_b32 s13, s13, exec_lo
	s_delay_alu instid0(SALU_CYCLE_1)
	s_or_b32 s75, s63, s13
	s_mov_b32 s63, 0
	s_and_saveexec_b32 s76, s75
	s_cbranch_execz .LBB2_205
	s_branch .LBB2_204
.LBB2_210:                              ;   in Loop: Header=BB2_207 Depth=3
	s_add_co_i32 s63, s63, 1
	s_mov_b32 s74, -1
                                        ; implicit-def: $vgpr2
	s_and_saveexec_b32 s76, s75
	s_cbranch_execz .LBB2_205
	s_branch .LBB2_204
.LBB2_211:                              ;   in Loop: Header=BB2_201 Depth=2
	s_or_b32 exec_lo, exec_lo, s41
	s_xor_b32 s13, s60, -1
	s_delay_alu instid0(SALU_CYCLE_1) | instskip(NEXT) | instid1(SALU_CYCLE_1)
	s_and_saveexec_b32 s41, s13
	s_xor_b32 s13, exec_lo, s41
	s_cbranch_execz .LBB2_213
; %bb.212:                              ;   in Loop: Header=BB2_201 Depth=2
	v_or_b32_e32 v30, 64, v30
	s_wait_storecnt 0x0
	s_wait_loadcnt_dscnt 0x0
	ds_store_b32 v0, v2
	s_trap 2
.LBB2_213:                              ;   in Loop: Header=BB2_201 Depth=2
	s_or_b32 exec_lo, exec_lo, s13
.LBB2_214:                              ;   in Loop: Header=BB2_201 Depth=2
	s_delay_alu instid0(SALU_CYCLE_1) | instskip(SKIP_4) | instid1(VALU_DEP_1)
	s_or_b32 exec_lo, exec_lo, s40
	v_and_b32_e32 v2, 0x100, v30
	s_mov_b32 s40, 0
	s_mov_b32 s13, exec_lo
	;;#ASMSTART
	s_wakeup
	;;#ASMEND
                                        ; implicit-def: $vgpr102_vgpr103
	v_cmpx_ne_u32_e32 0, v2
	s_xor_b32 s13, exec_lo, s13
	s_cbranch_execz .LBB2_235
; %bb.215:                              ;   in Loop: Header=BB2_201 Depth=2
	v_dual_ashrrev_i32 v9, 31, v8 :: v_dual_bitop2_b32 v2, 7, v86 bitop3:0x40
	s_mov_b32 s40, -1
	s_mov_b32 s41, exec_lo
	s_delay_alu instid0(VALU_DEP_1) | instskip(NEXT) | instid1(VALU_DEP_2)
	v_mad_nc_u64_u32 v[86:87], v2, 24, v[6:7]
	v_lshlrev_b64_e32 v[102:103], 2, v[8:9]
	s_clause 0x1
	flat_load_b32 v11, v[86:87]
	flat_store_b64 v[86:87], v[102:103] offset:8
                                        ; implicit-def: $vgpr102_vgpr103
	s_wait_loadcnt_dscnt 0x1
	v_cmpx_eq_u32_e32 1, v11
	s_cbranch_execz .LBB2_217
; %bb.216:                              ;   in Loop: Header=BB2_201 Depth=2
	flat_load_b32 v86, v[86:87] offset:4 scope:SCOPE_SYS
	s_xor_b32 s40, exec_lo, -1
	s_wait_loadcnt_dscnt 0x0
	v_ashrrev_i32_e32 v87, 31, v86
	s_delay_alu instid0(VALU_DEP_1)
	v_lshrrev_b64 v[102:103], 2, v[86:87]
.LBB2_217:                              ;   in Loop: Header=BB2_201 Depth=2
	s_or_b32 exec_lo, exec_lo, s41
	s_delay_alu instid0(SALU_CYCLE_1)
	s_and_b32 s40, s40, exec_lo
                                        ; implicit-def: $vgpr86_vgpr87
	s_and_not1_saveexec_b32 s13, s13
	s_cbranch_execnz .LBB2_236
.LBB2_218:                              ;   in Loop: Header=BB2_201 Depth=2
	s_or_b32 exec_lo, exec_lo, s13
	s_and_saveexec_b32 s13, s40
.LBB2_219:                              ;   in Loop: Header=BB2_201 Depth=2
	v_mul_u64_e32 v[102:103], v[2:3], v[22:23]
.LBB2_220:                              ;   in Loop: Header=BB2_201 Depth=2
	s_or_b32 exec_lo, exec_lo, s13
	v_and_b32_e32 v2, 0x2000, v30
	s_delay_alu instid0(VALU_DEP_2)
	v_lshl_add_u64 v[86:87], v[102:103], 2, v[24:25]
	s_mov_b32 s13, exec_lo
	ds_store_b64 v0, v[86:87] offset:784
	v_cmpx_ne_u32_e32 0, v2
	s_cbranch_execz .LBB2_222
; %bb.221:                              ;   in Loop: Header=BB2_201 Depth=2
	ds_load_b64 v[86:87], v0 offset:872
	s_wait_dscnt 0x0
	v_add_nc_u64_e32 v[86:87], 1, v[86:87]
	ds_store_b64 v0, v[86:87] offset:872
.LBB2_222:                              ;   in Loop: Header=BB2_201 Depth=2
	s_or_b32 exec_lo, exec_lo, s13
	v_mov_b64_e32 v[86:87], v[100:101]
.LBB2_223:                              ;   in Loop: Header=BB2_201 Depth=2
	s_or_b32 exec_lo, exec_lo, s27
	s_xor_b32 s13, s18, -1
	s_delay_alu instid0(SALU_CYCLE_1) | instskip(NEXT) | instid1(SALU_CYCLE_1)
	s_and_b32 s13, exec_lo, s13
	s_or_b32 s15, s13, s15
	s_and_saveexec_b32 s13, s2
	s_cbranch_execz .LBB2_244
; %bb.224:                              ;   in Loop: Header=BB2_201 Depth=2
	s_and_saveexec_b32 s18, s3
	s_delay_alu instid0(SALU_CYCLE_1)
	s_xor_b32 s18, exec_lo, s18
	s_cbranch_execz .LBB2_241
; %bb.225:                              ;   in Loop: Header=BB2_201 Depth=2
	s_and_saveexec_b32 s27, s6
	s_cbranch_execz .LBB2_240
; %bb.226:                              ;   in Loop: Header=BB2_201 Depth=2
	s_mov_b32 s41, exec_lo
	s_mov_b32 s40, exec_lo
	v_mbcnt_lo_u32_b32 v2, s41, 0
	global_wb scope:SCOPE_DEV
	s_wait_storecnt 0x0
	s_wait_loadcnt_dscnt 0x0
	global_inv scope:SCOPE_DEV
	v_cmpx_eq_u32_e32 0, v2
	s_cbranch_execz .LBB2_228
; %bb.227:                              ;   in Loop: Header=BB2_201 Depth=2
	s_bcnt1_i32_b32 s41, s41
	s_delay_alu instid0(SALU_CYCLE_1)
	v_mov_b32_e32 v2, s41
	s_wait_loadcnt 0x0
	ds_add_u64 v0, v[2:3]
	s_trap 2
.LBB2_228:                              ;   in Loop: Header=BB2_201 Depth=2
	s_or_b32 exec_lo, exec_lo, s40
	s_trap 2
	ds_load_b64 v[100:101], v0
	s_wait_dscnt 0x0
	v_add_nc_u64_e32 v[12:13], v[12:13], v[32:33]
	s_mov_b32 s40, exec_lo
	s_delay_alu instid0(VALU_DEP_1)
	v_cmpx_lt_u64_e64 v[100:101], v[12:13]
	s_cbranch_execz .LBB2_239
; %bb.229:                              ;   in Loop: Header=BB2_201 Depth=2
	s_mov_b32 s41, 0
	s_mov_b32 s62, 0
                                        ; implicit-def: $sgpr60
                                        ; implicit-def: $sgpr61
	s_branch .LBB2_231
.LBB2_230:                              ;   in Loop: Header=BB2_231 Depth=3
	s_or_b32 exec_lo, exec_lo, s72
	s_delay_alu instid0(SALU_CYCLE_1) | instskip(NEXT) | instid1(SALU_CYCLE_1)
	s_and_b32 s63, exec_lo, s73
	s_or_b32 s41, s63, s41
	s_and_not1_b32 s60, s60, exec_lo
	s_and_b32 s63, s61, exec_lo
	s_delay_alu instid0(SALU_CYCLE_1)
	s_or_b32 s60, s60, s63
	s_and_not1_b32 exec_lo, exec_lo, s41
	s_cbranch_execz .LBB2_237
.LBB2_231:                              ;   Parent Loop BB2_47 Depth=1
                                        ;     Parent Loop BB2_201 Depth=2
                                        ; =>    This Inner Loop Header: Depth=3
	s_add_co_i32 s62, s62, 1
	s_delay_alu instid0(SALU_CYCLE_1) | instskip(SKIP_1) | instid1(SALU_CYCLE_1)
	s_cmp_lg_u32 s62, 0x2710
	s_cselect_b32 s63, -1, 0
	s_and_b32 vcc_lo, exec_lo, s63
	s_cbranch_vccz .LBB2_233
; %bb.232:                              ;   in Loop: Header=BB2_231 Depth=3
	s_mov_b32 s73, -1
	s_or_b32 s61, s61, exec_lo
	s_and_saveexec_b32 s72, s63
	s_cbranch_execz .LBB2_230
	s_branch .LBB2_234
.LBB2_233:                              ;   in Loop: Header=BB2_231 Depth=3
	s_trap 2
	ds_load_b64 v[100:101], v0
	s_and_not1_b32 s63, s63, exec_lo
	s_mov_b32 s62, 0
	s_wait_loadcnt_dscnt 0x0
	flat_load_b32 v2, v[100:101] scope:SCOPE_SYS
	s_wait_loadcnt_dscnt 0x0
	global_inv scope:SCOPE_SYS
	v_cmp_eq_u32_e32 vcc_lo, 0, v2
	s_and_b32 s72, vcc_lo, exec_lo
	s_delay_alu instid0(SALU_CYCLE_1)
	s_or_b32 s63, s63, s72
	s_mov_b32 s73, -1
	s_or_b32 s61, s61, exec_lo
	s_and_saveexec_b32 s72, s63
	s_cbranch_execz .LBB2_230
.LBB2_234:                              ;   in Loop: Header=BB2_231 Depth=3
	s_sleep 1
	s_trap 2
	ds_load_b64 v[100:101], v0
	s_wait_dscnt 0x0
	s_and_not1_b32 s61, s61, exec_lo
	v_cmp_ge_u64_e32 vcc_lo, v[100:101], v[12:13]
	s_or_not1_b32 s73, vcc_lo, exec_lo
	s_branch .LBB2_230
.LBB2_235:                              ;   in Loop: Header=BB2_201 Depth=2
	s_and_not1_saveexec_b32 s13, s13
	s_cbranch_execz .LBB2_218
.LBB2_236:                              ;   in Loop: Header=BB2_201 Depth=2
	v_and_b32_e32 v2, 7, v86
	s_or_b32 s40, s40, exec_lo
	s_or_b32 exec_lo, exec_lo, s13
	s_and_saveexec_b32 s13, s40
	s_cbranch_execnz .LBB2_219
	s_branch .LBB2_220
.LBB2_237:                              ;   in Loop: Header=BB2_201 Depth=2
	s_or_b32 exec_lo, exec_lo, s41
	s_and_saveexec_b32 s41, s60
	s_delay_alu instid0(SALU_CYCLE_1)
	s_xor_b32 s41, exec_lo, s41
	s_cbranch_execz .LBB2_239
; %bb.238:                              ;   in Loop: Header=BB2_201 Depth=2
	ds_store_b32 v0, v57
	s_trap 2
.LBB2_239:                              ;   in Loop: Header=BB2_201 Depth=2
	s_or_b32 exec_lo, exec_lo, s40
	;;#ASMSTART
	s_wakeup
	;;#ASMEND
.LBB2_240:                              ;   in Loop: Header=BB2_201 Depth=2
	s_or_b32 exec_lo, exec_lo, s27
.LBB2_241:                              ;   in Loop: Header=BB2_201 Depth=2
	s_and_not1_saveexec_b32 s18, s18
	s_cbranch_execz .LBB2_243
; %bb.242:                              ;   in Loop: Header=BB2_201 Depth=2
	global_wb scope:SCOPE_DEV
	s_wait_storecnt 0x0
	s_wait_loadcnt_dscnt 0x0
	global_inv scope:SCOPE_DEV
	s_barrier_signal -1
	s_barrier_wait -1
.LBB2_243:                              ;   in Loop: Header=BB2_201 Depth=2
	s_or_b32 exec_lo, exec_lo, s18
.LBB2_244:                              ;   in Loop: Header=BB2_201 Depth=2
	s_delay_alu instid0(SALU_CYCLE_1) | instskip(SKIP_2) | instid1(SALU_CYCLE_1)
	s_or_b32 exec_lo, exec_lo, s13
	v_and_b32_e32 v9, 16, v30
	s_and_saveexec_b32 s13, s7
	s_xor_b32 s18, exec_lo, s13
	s_cbranch_execz .LBB2_248
; %bb.245:                              ;   in Loop: Header=BB2_201 Depth=2
	s_trap 2
	ds_load_b32 v2, v0
	v_cmp_lt_i32_e32 vcc_lo, 0, v8
	v_and_b32_e32 v9, 16, v30
	s_wait_dscnt 0x0
	v_readfirstlane_b32 s13, v2
	v_and_b32_e32 v2, 16, v30
	s_cmp_eq_u32 s13, 0
	s_delay_alu instid0(VALU_DEP_1) | instskip(SKIP_1) | instid1(SALU_CYCLE_1)
	v_cmp_ne_u32_e64 s13, 0, v2
	s_cselect_b32 s27, -1, 0
	s_and_b32 s27, vcc_lo, s27
	s_delay_alu instid0(SALU_CYCLE_1) | instskip(NEXT) | instid1(SALU_CYCLE_1)
	s_and_b32 s27, s13, s27
	s_and_saveexec_b32 s13, s27
	s_cbranch_execz .LBB2_247
; %bb.246:                              ;   in Loop: Header=BB2_201 Depth=2
	v_mov_b32_e32 v9, 1
	global_wb scope:SCOPE_SYS
	s_wait_loadcnt 0x0
	s_wait_storecnt 0x0
	global_inv scope:SCOPE_SYS
.LBB2_247:                              ;   in Loop: Header=BB2_201 Depth=2
	s_or_b32 exec_lo, exec_lo, s13
.LBB2_248:                              ;   in Loop: Header=BB2_201 Depth=2
	s_and_not1_saveexec_b32 s13, s18
	s_cbranch_execz .LBB2_267
; %bb.249:                              ;   in Loop: Header=BB2_201 Depth=2
	s_and_saveexec_b32 s18, s3
	s_delay_alu instid0(SALU_CYCLE_1)
	s_xor_b32 s18, exec_lo, s18
	s_cbranch_execz .LBB2_264
; %bb.250:                              ;   in Loop: Header=BB2_201 Depth=2
	s_and_saveexec_b32 s27, s6
	s_cbranch_execz .LBB2_263
; %bb.251:                              ;   in Loop: Header=BB2_201 Depth=2
	s_mov_b32 s41, exec_lo
	s_mov_b32 s40, exec_lo
	v_mbcnt_lo_u32_b32 v2, s41, 0
	;;#ASMSTART
	s_waitcnt lgkmcnt(0) vmcnt(0)
	;;#ASMEND
	s_delay_alu instid0(VALU_DEP_1)
	v_cmpx_eq_u32_e32 0, v2
	s_cbranch_execz .LBB2_253
; %bb.252:                              ;   in Loop: Header=BB2_201 Depth=2
	s_bcnt1_i32_b32 s41, s41
	s_delay_alu instid0(SALU_CYCLE_1)
	v_mov_b32_e32 v2, s41
	s_wait_storecnt 0x0
	s_wait_loadcnt_dscnt 0x0
	ds_add_u64 v0, v[2:3]
	s_trap 2
.LBB2_253:                              ;   in Loop: Header=BB2_201 Depth=2
	s_or_b32 exec_lo, exec_lo, s40
	s_trap 2
	ds_load_b64 v[100:101], v0
	s_wait_dscnt 0x0
	v_add_nc_u64_e32 v[12:13], v[12:13], v[32:33]
	s_mov_b32 s40, exec_lo
	s_delay_alu instid0(VALU_DEP_1)
	v_cmpx_lt_u64_e64 v[100:101], v[12:13]
	s_cbranch_execz .LBB2_262
; %bb.254:                              ;   in Loop: Header=BB2_201 Depth=2
	s_mov_b32 s41, 0
	s_mov_b32 s62, 0
                                        ; implicit-def: $sgpr60
                                        ; implicit-def: $sgpr61
	s_branch .LBB2_256
.LBB2_255:                              ;   in Loop: Header=BB2_256 Depth=3
	s_or_b32 exec_lo, exec_lo, s72
	s_delay_alu instid0(SALU_CYCLE_1) | instskip(NEXT) | instid1(SALU_CYCLE_1)
	s_and_b32 s63, exec_lo, s73
	s_or_b32 s41, s63, s41
	s_and_not1_b32 s60, s60, exec_lo
	s_and_b32 s63, s61, exec_lo
	s_delay_alu instid0(SALU_CYCLE_1)
	s_or_b32 s60, s60, s63
	s_and_not1_b32 exec_lo, exec_lo, s41
	s_cbranch_execz .LBB2_260
.LBB2_256:                              ;   Parent Loop BB2_47 Depth=1
                                        ;     Parent Loop BB2_201 Depth=2
                                        ; =>    This Inner Loop Header: Depth=3
	s_add_co_i32 s62, s62, 1
	s_delay_alu instid0(SALU_CYCLE_1) | instskip(SKIP_1) | instid1(SALU_CYCLE_1)
	s_cmp_lg_u32 s62, 0x2710
	s_cselect_b32 s63, -1, 0
	s_and_b32 vcc_lo, exec_lo, s63
	s_cbranch_vccz .LBB2_258
; %bb.257:                              ;   in Loop: Header=BB2_256 Depth=3
	s_mov_b32 s73, -1
	s_or_b32 s61, s61, exec_lo
	s_and_saveexec_b32 s72, s63
	s_cbranch_execz .LBB2_255
	s_branch .LBB2_259
.LBB2_258:                              ;   in Loop: Header=BB2_256 Depth=3
	s_trap 2
	ds_load_b64 v[100:101], v0
	s_and_not1_b32 s63, s63, exec_lo
	s_mov_b32 s62, 0
	s_wait_storecnt 0x0
	s_wait_loadcnt_dscnt 0x0
	flat_load_b32 v2, v[100:101] scope:SCOPE_SYS
	s_wait_loadcnt_dscnt 0x0
	global_inv scope:SCOPE_SYS
	v_cmp_eq_u32_e32 vcc_lo, 0, v2
	s_and_b32 s72, vcc_lo, exec_lo
	s_delay_alu instid0(SALU_CYCLE_1)
	s_or_b32 s63, s63, s72
	s_mov_b32 s73, -1
	s_or_b32 s61, s61, exec_lo
	s_and_saveexec_b32 s72, s63
	s_cbranch_execz .LBB2_255
.LBB2_259:                              ;   in Loop: Header=BB2_256 Depth=3
	s_sleep 1
	s_trap 2
	ds_load_b64 v[100:101], v0
	s_wait_dscnt 0x0
	s_and_not1_b32 s61, s61, exec_lo
	v_cmp_ge_u64_e32 vcc_lo, v[100:101], v[12:13]
	s_or_not1_b32 s73, vcc_lo, exec_lo
	s_branch .LBB2_255
.LBB2_260:                              ;   in Loop: Header=BB2_201 Depth=2
	s_or_b32 exec_lo, exec_lo, s41
	s_and_saveexec_b32 s41, s60
	s_delay_alu instid0(SALU_CYCLE_1)
	s_xor_b32 s41, exec_lo, s41
	s_cbranch_execz .LBB2_262
; %bb.261:                              ;   in Loop: Header=BB2_201 Depth=2
	ds_store_b32 v0, v57
	s_trap 2
.LBB2_262:                              ;   in Loop: Header=BB2_201 Depth=2
	s_or_b32 exec_lo, exec_lo, s40
	;;#ASMSTART
	s_wakeup
	;;#ASMEND
.LBB2_263:                              ;   in Loop: Header=BB2_201 Depth=2
	s_or_b32 exec_lo, exec_lo, s27
.LBB2_264:                              ;   in Loop: Header=BB2_201 Depth=2
	s_and_not1_saveexec_b32 s18, s18
	s_cbranch_execz .LBB2_266
; %bb.265:                              ;   in Loop: Header=BB2_201 Depth=2
	;;#ASMSTART
	s_waitcnt lgkmcnt(0) vmcnt(0)
	;;#ASMEND
	s_barrier_signal -1
	s_barrier_wait -1
.LBB2_266:                              ;   in Loop: Header=BB2_201 Depth=2
	s_or_b32 exec_lo, exec_lo, s18
.LBB2_267:                              ;   in Loop: Header=BB2_201 Depth=2
	s_delay_alu instid0(SALU_CYCLE_1) | instskip(NEXT) | instid1(SALU_CYCLE_1)
	s_or_b32 exec_lo, exec_lo, s13
	s_mov_b32 s13, exec_lo
	v_cmpx_ne_u32_e32 0, v9
	s_cbranch_execz .LBB2_200
; %bb.268:                              ;   in Loop: Header=BB2_201 Depth=2
	s_and_saveexec_b32 s18, s5
	s_cbranch_execz .LBB2_199
; %bb.269:                              ;   in Loop: Header=BB2_201 Depth=2
	global_wb scope:SCOPE_SYS
	s_wait_storecnt 0x0
	s_wait_loadcnt_dscnt 0x0
	flat_store_b32 v[26:27], v57 scope:SCOPE_SYS
	s_branch .LBB2_199
.LBB2_270:                              ;   in Loop: Header=BB2_47 Depth=1
	s_or_b32 exec_lo, exec_lo, s15
.LBB2_271:                              ;   in Loop: Header=BB2_47 Depth=1
	s_delay_alu instid0(SALU_CYCLE_1) | instskip(NEXT) | instid1(SALU_CYCLE_1)
	s_or_b32 exec_lo, exec_lo, s14
	s_and_not1_b32 vcc_lo, exec_lo, s46
	s_cbranch_vccnz .LBB2_496
; %bb.272:                              ;   in Loop: Header=BB2_47 Depth=1
	s_mov_b32 s14, 2
	s_branch .LBB2_275
.LBB2_273:                              ;   in Loop: Header=BB2_275 Depth=2
	s_or_b32 exec_lo, exec_lo, s18
.LBB2_274:                              ;   in Loop: Header=BB2_275 Depth=2
	s_delay_alu instid0(SALU_CYCLE_1) | instskip(SKIP_1) | instid1(SALU_CYCLE_1)
	s_or_b32 exec_lo, exec_lo, s15
	s_add_co_i32 s14, s14, 1
	s_cmp_eq_u32 s14, s16
	s_cbranch_scc1 .LBB2_496
.LBB2_275:                              ;   Parent Loop BB2_47 Depth=1
                                        ; =>  This Loop Header: Depth=2
                                        ;       Child Loop BB2_278 Depth 3
                                        ;         Child Loop BB2_286 Depth 4
                                        ;         Child Loop BB2_314 Depth 4
	;; [unrolled: 1-line block ×9, first 2 shown]
                                        ;       Child Loop BB2_424 Depth 3
                                        ;         Child Loop BB2_430 Depth 4
                                        ;         Child Loop BB2_458 Depth 4
	;; [unrolled: 1-line block ×3, first 2 shown]
	s_sub_co_i32 s13, s44, s14
	s_mov_b32 s18, 0
	s_cmp_ge_i32 s13, s16
	v_mov_b32_e32 v10, 0
	s_cselect_b32 s15, s16, 0
	s_delay_alu instid0(SALU_CYCLE_1) | instskip(NEXT) | instid1(SALU_CYCLE_1)
	s_sub_co_i32 s40, s13, s15
	s_ashr_i32 s41, s40, 31
	s_delay_alu instid0(SALU_CYCLE_1) | instskip(NEXT) | instid1(VALU_DEP_1)
	v_mul_u64_e32 v[100:101], s[40:41], v[84:85]
	v_sub_nc_u64_e32 v[8:9], v[96:97], v[100:101]
	s_delay_alu instid0(VALU_DEP_1) | instskip(NEXT) | instid1(VALU_DEP_1)
	v_min_i64 v[8:9], v[84:85], v[8:9]
	v_max_i32_e32 v40, 0, v8
	v_cmp_lt_i32_e32 vcc_lo, 0, v8
	s_delay_alu instid0(VALU_DEP_2) | instskip(SKIP_1) | instid1(VALU_DEP_1)
	v_add_nc_u32_e32 v2, 31, v40
	s_and_b32 s13, s57, vcc_lo
	v_lshrrev_b32_e32 v2, 1, v2
	s_delay_alu instid0(VALU_DEP_1) | instskip(NEXT) | instid1(VALU_DEP_1)
	v_and_b32_e32 v9, 0x3ffffff0, v2
	v_dual_mov_b32 v2, 0 :: v_dual_max_i32 v8, s45, v9
	s_and_saveexec_b32 s15, s13
	s_cbranch_execz .LBB2_421
; %bb.276:                              ;   in Loop: Header=BB2_275 Depth=2
	v_mov_b32_e32 v10, 0
	s_mov_b32 s40, 1
	s_mov_b32 s27, -1
	s_branch .LBB2_278
.LBB2_277:                              ;   in Loop: Header=BB2_278 Depth=3
	s_wait_xcnt 0x0
	s_or_b32 exec_lo, exec_lo, s13
	v_dual_add_nc_u32 v10, v8, v10 :: v_dual_mov_b32 v2, s40
	s_xor_b32 s13, s27, -1
	s_mov_b32 s27, 0
	s_mov_b32 s40, 2
	s_delay_alu instid0(VALU_DEP_1) | instskip(SKIP_1) | instid1(SALU_CYCLE_1)
	v_cmp_ge_i32_e32 vcc_lo, v10, v40
	s_or_b32 s13, s13, vcc_lo
	s_and_b32 s13, exec_lo, s13
	s_delay_alu instid0(SALU_CYCLE_1) | instskip(NEXT) | instid1(SALU_CYCLE_1)
	s_or_b32 s18, s13, s18
	s_and_not1_b32 exec_lo, exec_lo, s18
	s_cbranch_execz .LBB2_420
.LBB2_278:                              ;   Parent Loop BB2_47 Depth=1
                                        ;     Parent Loop BB2_275 Depth=2
                                        ; =>    This Loop Header: Depth=3
                                        ;         Child Loop BB2_286 Depth 4
                                        ;         Child Loop BB2_314 Depth 4
	;; [unrolled: 1-line block ×9, first 2 shown]
	s_and_saveexec_b32 s13, s0
	s_cbranch_execz .LBB2_280
; %bb.279:                              ;   in Loop: Header=BB2_278 Depth=3
	s_trap 2
	ds_load_b64 v[102:103], v0
	v_ashrrev_i32_e32 v11, 31, v10
	s_wait_dscnt 0x0
	v_lshl_add_u64 v[102:103], v[98:99], 2, v[102:103]
	s_delay_alu instid0(VALU_DEP_1) | instskip(NEXT) | instid1(VALU_DEP_1)
	v_lshl_add_u64 v[102:103], v[100:101], 2, v[102:103]
	v_lshl_add_u64 v[102:103], v[10:11], 2, v[102:103]
	ds_store_b64 v0, v[102:103]
	ds_store_b64 v0, v[34:35]
.LBB2_280:                              ;   in Loop: Header=BB2_278 Depth=3
	s_or_b32 exec_lo, exec_lo, s13
	v_sub_nc_u32_e32 v2, v40, v10
	v_and_b32_e32 v9, 12, v30
	s_mov_b32 s41, exec_lo
	s_delay_alu instid0(VALU_DEP_2) | instskip(NEXT) | instid1(VALU_DEP_2)
	v_min_i32_e32 v8, v8, v2
	v_cmpx_ne_u32_e32 0, v9
	s_cbranch_execz .LBB2_306
; %bb.281:                              ;   in Loop: Header=BB2_278 Depth=3
	v_and_b32_e32 v2, 8, v30
	v_add_nc_u64_e32 v[102:103], 2, v[86:87]
	s_mov_b32 s60, exec_lo
	s_wait_loadcnt_dscnt 0x1
	s_delay_alu instid0(VALU_DEP_2) | instskip(NEXT) | instid1(VALU_DEP_1)
	v_add_nc_u64_e32 v[112:113], v[28:29], v[2:3]
	v_cmpx_lt_u64_e64 v[112:113], v[102:103]
	s_cbranch_execz .LBB2_293
; %bb.282:                              ;   in Loop: Header=BB2_278 Depth=3
	v_and_b32_e32 v9, 64, v30
	s_mov_b32 s61, 0
	s_mov_b32 s73, 0
                                        ; implicit-def: $sgpr62
                                        ; implicit-def: $sgpr63
                                        ; implicit-def: $sgpr72
	s_delay_alu instid0(VALU_DEP_1)
	v_cmp_eq_u32_e32 vcc_lo, 0, v9
	s_branch .LBB2_286
.LBB2_283:                              ;   in Loop: Header=BB2_286 Depth=4
	s_wait_loadcnt_dscnt 0x0
	v_add_nc_u64_e32 v[112:113], v[28:29], v[2:3]
	s_or_b32 s76, s76, exec_lo
	s_delay_alu instid0(VALU_DEP_1)
	v_cmp_ge_u64_e64 s13, v[112:113], v[102:103]
	s_or_not1_b32 s75, s13, exec_lo
.LBB2_284:                              ;   in Loop: Header=BB2_286 Depth=4
	s_or_b32 exec_lo, exec_lo, s78
	s_delay_alu instid0(SALU_CYCLE_1)
	s_and_not1_b32 s13, s72, exec_lo
	s_and_b32 s72, s76, exec_lo
	s_and_not1_b32 s63, s63, exec_lo
	s_and_b32 s75, s75, exec_lo
	s_or_b32 s72, s13, s72
	s_or_b32 s63, s63, s75
.LBB2_285:                              ;   in Loop: Header=BB2_286 Depth=4
	s_or_b32 exec_lo, exec_lo, s74
	s_delay_alu instid0(SALU_CYCLE_1) | instskip(NEXT) | instid1(SALU_CYCLE_1)
	s_and_b32 s13, exec_lo, s63
	s_or_b32 s61, s13, s61
	s_and_not1_b32 s13, s62, exec_lo
	s_and_b32 s62, s72, exec_lo
	s_delay_alu instid0(SALU_CYCLE_1)
	s_or_b32 s62, s13, s62
	s_and_not1_b32 exec_lo, exec_lo, s61
	s_cbranch_execz .LBB2_290
.LBB2_286:                              ;   Parent Loop BB2_47 Depth=1
                                        ;     Parent Loop BB2_275 Depth=2
                                        ;       Parent Loop BB2_278 Depth=3
                                        ; =>      This Inner Loop Header: Depth=4
	s_sleep 1
	s_wait_loadcnt_dscnt 0x0
	flat_load_b64 v[28:29], v[20:21] scope:SCOPE_SYS
	s_or_b32 s72, s72, exec_lo
	s_or_b32 s63, s63, exec_lo
                                        ; implicit-def: $vgpr9
	s_wait_xcnt 0x0
	s_and_saveexec_b32 s74, vcc_lo
	s_cbranch_execz .LBB2_285
; %bb.287:                              ;   in Loop: Header=BB2_286 Depth=4
	s_cmp_lt_i32 s73, 0x270f
	s_mov_b32 s75, -1
	s_cselect_b32 s77, -1, 0
	s_cmp_gt_i32 s73, 0x270e
	s_cbranch_scc0 .LBB2_289
; %bb.288:                              ;   in Loop: Header=BB2_286 Depth=4
	s_trap 2
	ds_load_b64 v[112:113], v0
	s_and_not1_b32 s73, s77, exec_lo
	s_mov_b32 s76, 0
	s_wait_storecnt 0x0
	s_wait_loadcnt_dscnt 0x0
	flat_load_b32 v9, v[112:113] scope:SCOPE_SYS
	s_wait_loadcnt_dscnt 0x0
	global_inv scope:SCOPE_SYS
	v_cmp_eq_u32_e64 s13, 0, v9
	s_and_b32 s13, s13, exec_lo
	s_delay_alu instid0(SALU_CYCLE_1)
	s_or_b32 s77, s73, s13
	s_mov_b32 s73, 0
	s_and_saveexec_b32 s78, s77
	s_cbranch_execz .LBB2_284
	s_branch .LBB2_283
.LBB2_289:                              ;   in Loop: Header=BB2_286 Depth=4
	s_add_co_i32 s73, s73, 1
	s_mov_b32 s76, -1
                                        ; implicit-def: $vgpr9
	s_and_saveexec_b32 s78, s77
	s_cbranch_execz .LBB2_284
	s_branch .LBB2_283
.LBB2_290:                              ;   in Loop: Header=BB2_278 Depth=3
	s_or_b32 exec_lo, exec_lo, s61
	s_xor_b32 s13, s62, -1
	s_delay_alu instid0(SALU_CYCLE_1) | instskip(NEXT) | instid1(SALU_CYCLE_1)
	s_and_saveexec_b32 s61, s13
	s_xor_b32 s13, exec_lo, s61
	s_cbranch_execz .LBB2_292
; %bb.291:                              ;   in Loop: Header=BB2_278 Depth=3
	v_or_b32_e32 v30, 64, v30
	s_wait_storecnt 0x0
	s_wait_loadcnt_dscnt 0x0
	ds_store_b32 v0, v9
	s_trap 2
.LBB2_292:                              ;   in Loop: Header=BB2_278 Depth=3
	s_or_b32 exec_lo, exec_lo, s13
.LBB2_293:                              ;   in Loop: Header=BB2_278 Depth=3
	s_delay_alu instid0(SALU_CYCLE_1) | instskip(SKIP_3) | instid1(VALU_DEP_1)
	s_or_b32 exec_lo, exec_lo, s60
	v_and_b32_e32 v9, 0x108, v30
	s_mov_b32 s13, exec_lo
	;;#ASMSTART
	s_wakeup
	;;#ASMEND
                                        ; implicit-def: $vgpr112_vgpr113
	v_cmpx_ne_u32_e32 0x108, v9
	s_xor_b32 s13, exec_lo, s13
; %bb.294:                              ;   in Loop: Header=BB2_278 Depth=3
	v_dual_mov_b32 v113, v3 :: v_dual_bitop2_b32 v112, 7, v86 bitop3:0x40
                                        ; implicit-def: $vgpr86_vgpr87
; %bb.295:                              ;   in Loop: Header=BB2_278 Depth=3
	s_and_not1_saveexec_b32 s13, s13
	s_cbranch_execz .LBB2_297
; %bb.296:                              ;   in Loop: Header=BB2_278 Depth=3
	v_dual_ashrrev_i32 v9, 31, v8 :: v_dual_bitop2_b32 v112, 7, v86 bitop3:0x40
	v_mov_b32_e32 v113, v3
	s_delay_alu instid0(VALU_DEP_2) | instskip(NEXT) | instid1(VALU_DEP_3)
	v_mad_nc_u64_u32 v[86:87], v112, 24, v[6:7]
	v_lshlrev_b64_e32 v[114:115], 2, v[8:9]
	flat_store_b64 v[86:87], v[114:115] offset:8
.LBB2_297:                              ;   in Loop: Header=BB2_278 Depth=3
	s_wait_xcnt 0x0
	s_or_b32 exec_lo, exec_lo, s13
	v_and_b32_e32 v9, 0x100, v30
	s_mov_b32 s13, -1
	s_mov_b32 s60, exec_lo
                                        ; implicit-def: $vgpr86_vgpr87
	s_delay_alu instid0(VALU_DEP_1)
	v_cmpx_ne_u32_e32 0, v9
	s_cbranch_execz .LBB2_301
; %bb.298:                              ;   in Loop: Header=BB2_278 Depth=3
	v_mad_nc_u64_u32 v[114:115], v112, 24, v[6:7]
	s_mov_b32 s61, exec_lo
                                        ; implicit-def: $vgpr86_vgpr87
	s_delay_alu instid0(VALU_DEP_1)
	v_mad_u32 v115, v113, 24, v115
	flat_load_b32 v9, v[114:115]
	s_wait_loadcnt_dscnt 0x0
	v_cmp_ne_u32_e32 vcc_lo, 1, v9
	s_wait_xcnt 0x0
	v_cmpx_eq_u32_e32 1, v9
	s_cbranch_execz .LBB2_300
; %bb.299:                              ;   in Loop: Header=BB2_278 Depth=3
	flat_load_b32 v86, v[114:115] offset:4 scope:SCOPE_SYS
	s_wait_loadcnt_dscnt 0x0
	v_ashrrev_i32_e32 v87, 31, v86
	s_delay_alu instid0(VALU_DEP_1)
	v_lshrrev_b64 v[86:87], 2, v[86:87]
.LBB2_300:                              ;   in Loop: Header=BB2_278 Depth=3
	s_wait_xcnt 0x0
	s_or_b32 exec_lo, exec_lo, s61
	s_delay_alu instid0(SALU_CYCLE_1)
	s_or_not1_b32 s13, vcc_lo, exec_lo
.LBB2_301:                              ;   in Loop: Header=BB2_278 Depth=3
	s_or_b32 exec_lo, exec_lo, s60
	s_and_saveexec_b32 s60, s13
; %bb.302:                              ;   in Loop: Header=BB2_278 Depth=3
	v_mul_u64_e32 v[86:87], v[112:113], v[22:23]
; %bb.303:                              ;   in Loop: Header=BB2_278 Depth=3
	s_or_b32 exec_lo, exec_lo, s60
	v_cmp_eq_u32_e32 vcc_lo, 0, v2
	v_and_b32_e32 v9, 0x2000, v30
	s_delay_alu instid0(VALU_DEP_3) | instskip(SKIP_2) | instid1(VALU_DEP_1)
	v_lshl_add_u64 v[86:87], v[86:87], 2, v[24:25]
	s_mov_b32 s13, exec_lo
	v_cndmask_b32_e32 v2, 0xc8, v58, vcc_lo
	v_add_nc_u32_e32 v2, v0, v2
	ds_store_b64 v2, v[86:87] offset:584
	v_cmpx_ne_u32_e32 0, v9
	s_cbranch_execz .LBB2_305
; %bb.304:                              ;   in Loop: Header=BB2_278 Depth=3
	ds_load_b64 v[86:87], v0 offset:872
	s_wait_dscnt 0x0
	v_add_nc_u64_e32 v[86:87], 1, v[86:87]
	ds_store_b64 v0, v[86:87] offset:872
.LBB2_305:                              ;   in Loop: Header=BB2_278 Depth=3
	s_or_b32 exec_lo, exec_lo, s13
	v_mov_b64_e32 v[86:87], v[102:103]
.LBB2_306:                              ;   in Loop: Header=BB2_278 Depth=3
	s_or_b32 exec_lo, exec_lo, s41
	s_and_saveexec_b32 s13, s2
	s_cbranch_execz .LBB2_325
; %bb.307:                              ;   in Loop: Header=BB2_278 Depth=3
	s_and_saveexec_b32 s41, s3
	s_delay_alu instid0(SALU_CYCLE_1)
	s_xor_b32 s41, exec_lo, s41
	s_cbranch_execz .LBB2_322
; %bb.308:                              ;   in Loop: Header=BB2_278 Depth=3
	s_and_saveexec_b32 s60, s6
	s_cbranch_execz .LBB2_321
; %bb.309:                              ;   in Loop: Header=BB2_278 Depth=3
	s_mov_b32 s62, exec_lo
	s_mov_b32 s61, exec_lo
	v_mbcnt_lo_u32_b32 v2, s62, 0
	global_wb scope:SCOPE_DEV
	s_wait_storecnt 0x0
	s_wait_loadcnt_dscnt 0x0
	global_inv scope:SCOPE_DEV
	v_cmpx_eq_u32_e32 0, v2
	s_cbranch_execz .LBB2_311
; %bb.310:                              ;   in Loop: Header=BB2_278 Depth=3
	s_bcnt1_i32_b32 s62, s62
	s_delay_alu instid0(SALU_CYCLE_1)
	v_mov_b32_e32 v2, s62
	s_wait_loadcnt 0x0
	ds_add_u64 v0, v[2:3]
	s_trap 2
.LBB2_311:                              ;   in Loop: Header=BB2_278 Depth=3
	s_or_b32 exec_lo, exec_lo, s61
	s_trap 2
	ds_load_b64 v[102:103], v0
	s_wait_dscnt 0x0
	v_add_nc_u64_e32 v[12:13], v[12:13], v[32:33]
	s_mov_b32 s61, exec_lo
	s_delay_alu instid0(VALU_DEP_1)
	v_cmpx_lt_u64_e64 v[102:103], v[12:13]
	s_cbranch_execz .LBB2_320
; %bb.312:                              ;   in Loop: Header=BB2_278 Depth=3
	s_mov_b32 s62, 0
	s_mov_b32 s73, 0
                                        ; implicit-def: $sgpr63
                                        ; implicit-def: $sgpr72
	s_branch .LBB2_314
.LBB2_313:                              ;   in Loop: Header=BB2_314 Depth=4
	s_or_b32 exec_lo, exec_lo, s75
	s_delay_alu instid0(SALU_CYCLE_1) | instskip(NEXT) | instid1(SALU_CYCLE_1)
	s_and_b32 s74, exec_lo, s76
	s_or_b32 s62, s74, s62
	s_and_not1_b32 s63, s63, exec_lo
	s_and_b32 s74, s72, exec_lo
	s_delay_alu instid0(SALU_CYCLE_1)
	s_or_b32 s63, s63, s74
	s_and_not1_b32 exec_lo, exec_lo, s62
	s_cbranch_execz .LBB2_318
.LBB2_314:                              ;   Parent Loop BB2_47 Depth=1
                                        ;     Parent Loop BB2_275 Depth=2
                                        ;       Parent Loop BB2_278 Depth=3
                                        ; =>      This Inner Loop Header: Depth=4
	s_add_co_i32 s73, s73, 1
	s_delay_alu instid0(SALU_CYCLE_1) | instskip(SKIP_1) | instid1(SALU_CYCLE_1)
	s_cmp_lg_u32 s73, 0x2710
	s_cselect_b32 s74, -1, 0
	s_and_b32 vcc_lo, exec_lo, s74
	s_cbranch_vccz .LBB2_316
; %bb.315:                              ;   in Loop: Header=BB2_314 Depth=4
	s_mov_b32 s76, -1
	s_or_b32 s72, s72, exec_lo
	s_and_saveexec_b32 s75, s74
	s_cbranch_execz .LBB2_313
	s_branch .LBB2_317
.LBB2_316:                              ;   in Loop: Header=BB2_314 Depth=4
	s_trap 2
	ds_load_b64 v[102:103], v0
	s_and_not1_b32 s74, s74, exec_lo
	s_mov_b32 s73, 0
	s_wait_loadcnt_dscnt 0x0
	flat_load_b32 v2, v[102:103] scope:SCOPE_SYS
	s_wait_loadcnt_dscnt 0x0
	global_inv scope:SCOPE_SYS
	v_cmp_eq_u32_e32 vcc_lo, 0, v2
	s_and_b32 s75, vcc_lo, exec_lo
	s_delay_alu instid0(SALU_CYCLE_1)
	s_or_b32 s74, s74, s75
	s_mov_b32 s76, -1
	s_or_b32 s72, s72, exec_lo
	s_and_saveexec_b32 s75, s74
	s_cbranch_execz .LBB2_313
.LBB2_317:                              ;   in Loop: Header=BB2_314 Depth=4
	s_sleep 1
	s_trap 2
	ds_load_b64 v[102:103], v0
	s_wait_dscnt 0x0
	s_and_not1_b32 s72, s72, exec_lo
	v_cmp_ge_u64_e32 vcc_lo, v[102:103], v[12:13]
	s_or_not1_b32 s76, vcc_lo, exec_lo
	s_branch .LBB2_313
.LBB2_318:                              ;   in Loop: Header=BB2_278 Depth=3
	s_or_b32 exec_lo, exec_lo, s62
	s_and_saveexec_b32 s62, s63
	s_delay_alu instid0(SALU_CYCLE_1)
	s_xor_b32 s62, exec_lo, s62
	s_cbranch_execz .LBB2_320
; %bb.319:                              ;   in Loop: Header=BB2_278 Depth=3
	ds_store_b32 v0, v57
	s_trap 2
.LBB2_320:                              ;   in Loop: Header=BB2_278 Depth=3
	s_or_b32 exec_lo, exec_lo, s61
	;;#ASMSTART
	s_wakeup
	;;#ASMEND
.LBB2_321:                              ;   in Loop: Header=BB2_278 Depth=3
	s_or_b32 exec_lo, exec_lo, s60
.LBB2_322:                              ;   in Loop: Header=BB2_278 Depth=3
	s_and_not1_saveexec_b32 s41, s41
	s_cbranch_execz .LBB2_324
; %bb.323:                              ;   in Loop: Header=BB2_278 Depth=3
	global_wb scope:SCOPE_DEV
	s_wait_storecnt 0x0
	s_wait_loadcnt_dscnt 0x0
	global_inv scope:SCOPE_DEV
	s_barrier_signal -1
	s_barrier_wait -1
.LBB2_324:                              ;   in Loop: Header=BB2_278 Depth=3
	s_or_b32 exec_lo, exec_lo, s41
.LBB2_325:                              ;   in Loop: Header=BB2_278 Depth=3
	s_delay_alu instid0(SALU_CYCLE_1) | instskip(SKIP_4) | instid1(VALU_DEP_1)
	s_or_b32 exec_lo, exec_lo, s13
	s_trap 2
	ds_load_b32 v9, v0
	v_and_b32_e32 v2, 0x4000, v30
	s_xor_b32 s13, s1, -1
	v_cmp_ne_u32_e32 vcc_lo, 0, v2
	s_and_b32 s41, s13, vcc_lo
	s_delay_alu instid0(SALU_CYCLE_1)
	s_and_saveexec_b32 s13, s41
	s_cbranch_execz .LBB2_344
; %bb.326:                              ;   in Loop: Header=BB2_278 Depth=3
	s_and_saveexec_b32 s41, s3
	s_delay_alu instid0(SALU_CYCLE_1)
	s_xor_b32 s41, exec_lo, s41
	s_cbranch_execz .LBB2_341
; %bb.327:                              ;   in Loop: Header=BB2_278 Depth=3
	s_and_saveexec_b32 s60, s6
	s_cbranch_execz .LBB2_340
; %bb.328:                              ;   in Loop: Header=BB2_278 Depth=3
	s_mov_b32 s62, exec_lo
	s_mov_b32 s61, exec_lo
	v_mbcnt_lo_u32_b32 v2, s62, 0
	global_wb scope:SCOPE_DEV
	s_wait_storecnt 0x0
	s_wait_loadcnt_dscnt 0x0
	global_inv scope:SCOPE_DEV
	v_cmpx_eq_u32_e32 0, v2
	s_cbranch_execz .LBB2_330
; %bb.329:                              ;   in Loop: Header=BB2_278 Depth=3
	s_bcnt1_i32_b32 s62, s62
	s_delay_alu instid0(SALU_CYCLE_1)
	v_mov_b32_e32 v2, s62
	s_wait_loadcnt 0x0
	ds_add_u64 v0, v[2:3]
	s_trap 2
.LBB2_330:                              ;   in Loop: Header=BB2_278 Depth=3
	s_or_b32 exec_lo, exec_lo, s61
	s_trap 2
	ds_load_b64 v[102:103], v0
	s_wait_dscnt 0x0
	v_add_nc_u64_e32 v[12:13], v[12:13], v[32:33]
	s_mov_b32 s61, exec_lo
	s_delay_alu instid0(VALU_DEP_1)
	v_cmpx_lt_u64_e64 v[102:103], v[12:13]
	s_cbranch_execz .LBB2_339
; %bb.331:                              ;   in Loop: Header=BB2_278 Depth=3
	s_mov_b32 s62, 0
	s_mov_b32 s73, 0
                                        ; implicit-def: $sgpr63
                                        ; implicit-def: $sgpr72
	s_branch .LBB2_333
.LBB2_332:                              ;   in Loop: Header=BB2_333 Depth=4
	s_or_b32 exec_lo, exec_lo, s75
	s_delay_alu instid0(SALU_CYCLE_1) | instskip(NEXT) | instid1(SALU_CYCLE_1)
	s_and_b32 s74, exec_lo, s76
	s_or_b32 s62, s74, s62
	s_and_not1_b32 s63, s63, exec_lo
	s_and_b32 s74, s72, exec_lo
	s_delay_alu instid0(SALU_CYCLE_1)
	s_or_b32 s63, s63, s74
	s_and_not1_b32 exec_lo, exec_lo, s62
	s_cbranch_execz .LBB2_337
.LBB2_333:                              ;   Parent Loop BB2_47 Depth=1
                                        ;     Parent Loop BB2_275 Depth=2
                                        ;       Parent Loop BB2_278 Depth=3
                                        ; =>      This Inner Loop Header: Depth=4
	s_add_co_i32 s73, s73, 1
	s_delay_alu instid0(SALU_CYCLE_1) | instskip(SKIP_1) | instid1(SALU_CYCLE_1)
	s_cmp_lg_u32 s73, 0x2710
	s_cselect_b32 s74, -1, 0
	s_and_b32 vcc_lo, exec_lo, s74
	s_cbranch_vccz .LBB2_335
; %bb.334:                              ;   in Loop: Header=BB2_333 Depth=4
	s_mov_b32 s76, -1
	s_or_b32 s72, s72, exec_lo
	s_and_saveexec_b32 s75, s74
	s_cbranch_execz .LBB2_332
	s_branch .LBB2_336
.LBB2_335:                              ;   in Loop: Header=BB2_333 Depth=4
	s_trap 2
	ds_load_b64 v[102:103], v0
	s_and_not1_b32 s74, s74, exec_lo
	s_mov_b32 s73, 0
	s_wait_loadcnt_dscnt 0x0
	flat_load_b32 v2, v[102:103] scope:SCOPE_SYS
	s_wait_loadcnt_dscnt 0x0
	global_inv scope:SCOPE_SYS
	v_cmp_eq_u32_e32 vcc_lo, 0, v2
	s_and_b32 s75, vcc_lo, exec_lo
	s_delay_alu instid0(SALU_CYCLE_1)
	s_or_b32 s74, s74, s75
	s_mov_b32 s76, -1
	s_or_b32 s72, s72, exec_lo
	s_and_saveexec_b32 s75, s74
	s_cbranch_execz .LBB2_332
.LBB2_336:                              ;   in Loop: Header=BB2_333 Depth=4
	s_sleep 1
	s_trap 2
	ds_load_b64 v[102:103], v0
	s_wait_dscnt 0x0
	s_and_not1_b32 s72, s72, exec_lo
	v_cmp_ge_u64_e32 vcc_lo, v[102:103], v[12:13]
	s_or_not1_b32 s76, vcc_lo, exec_lo
	s_branch .LBB2_332
.LBB2_337:                              ;   in Loop: Header=BB2_278 Depth=3
	s_or_b32 exec_lo, exec_lo, s62
	s_and_saveexec_b32 s62, s63
	s_delay_alu instid0(SALU_CYCLE_1)
	s_xor_b32 s62, exec_lo, s62
	s_cbranch_execz .LBB2_339
; %bb.338:                              ;   in Loop: Header=BB2_278 Depth=3
	ds_store_b32 v0, v57
	s_trap 2
.LBB2_339:                              ;   in Loop: Header=BB2_278 Depth=3
	s_or_b32 exec_lo, exec_lo, s61
	;;#ASMSTART
	s_wakeup
	;;#ASMEND
.LBB2_340:                              ;   in Loop: Header=BB2_278 Depth=3
	s_or_b32 exec_lo, exec_lo, s60
.LBB2_341:                              ;   in Loop: Header=BB2_278 Depth=3
	s_and_not1_saveexec_b32 s41, s41
	s_cbranch_execz .LBB2_343
; %bb.342:                              ;   in Loop: Header=BB2_278 Depth=3
	global_wb scope:SCOPE_DEV
	s_wait_storecnt 0x0
	s_wait_loadcnt_dscnt 0x0
	global_inv scope:SCOPE_DEV
	s_barrier_signal -1
	s_barrier_wait -1
.LBB2_343:                              ;   in Loop: Header=BB2_278 Depth=3
	s_or_b32 exec_lo, exec_lo, s41
.LBB2_344:                              ;   in Loop: Header=BB2_278 Depth=3
	s_delay_alu instid0(SALU_CYCLE_1)
	s_or_b32 exec_lo, exec_lo, s13
	s_trap 2
	ds_load_b64 v[102:103], v0
	s_wait_dscnt 0x0
	v_cmp_eq_u64_e32 vcc_lo, 0, v[102:103]
	s_cbranch_vccnz .LBB2_352
; %bb.345:                              ;   in Loop: Header=BB2_278 Depth=3
	s_trap 2
	ds_load_b64 v[112:113], v0
	s_wait_dscnt 0x0
	v_cmp_eq_u64_e32 vcc_lo, 0, v[112:113]
	s_cbranch_vccnz .LBB2_352
; %bb.346:                              ;   in Loop: Header=BB2_278 Depth=3
	s_mov_b32 s13, -1
	s_and_saveexec_b32 s41, s12
	s_cbranch_execz .LBB2_348
; %bb.347:                              ;   in Loop: Header=BB2_278 Depth=3
	ds_load_b32 v2, v0 offset:720
	s_wait_dscnt 0x0
	v_and_b32_e32 v2, 15, v2
	s_delay_alu instid0(VALU_DEP_1)
	v_cmp_eq_u32_e32 vcc_lo, 0, v2
	s_or_not1_b32 s13, vcc_lo, exec_lo
.LBB2_348:                              ;   in Loop: Header=BB2_278 Depth=3
	s_or_b32 exec_lo, exec_lo, s41
	s_and_saveexec_b32 s41, s11
	s_cbranch_execz .LBB2_350
; %bb.349:                              ;   in Loop: Header=BB2_278 Depth=3
	ds_load_b32 v2, v0 offset:784
	s_wait_dscnt 0x0
	v_and_b32_e32 v2, 15, v2
	s_delay_alu instid0(VALU_DEP_1) | instskip(SKIP_3) | instid1(SALU_CYCLE_1)
	v_cmp_eq_u32_e32 vcc_lo, 0, v2
	s_and_b32 s60, s13, vcc_lo
	s_and_not1_b32 s13, s13, exec_lo
	s_and_b32 s60, s60, exec_lo
	s_or_b32 s13, s13, s60
.LBB2_350:                              ;   in Loop: Header=BB2_278 Depth=3
	s_or_b32 exec_lo, exec_lo, s41
	v_cmp_eq_u32_e32 vcc_lo, 0, v9
	s_xor_b32 s13, s13, -1
	s_mov_b32 s60, -1
	v_cndmask_b32_e64 v11, 0, 1, s13
	v_cndmask_b32_e32 v2, 0, v8, vcc_lo
	s_delay_alu instid0(VALU_DEP_2) | instskip(NEXT) | instid1(VALU_DEP_2)
	v_cmp_ne_u32_e32 vcc_lo, 0, v11
	v_dual_mov_b32 v11, 0 :: v_dual_lshlrev_b32 v9, 2, v2
	s_cbranch_vccz .LBB2_353
; %bb.351:                              ;   in Loop: Header=BB2_278 Depth=3
	v_dual_mov_b32 v41, v0 :: v_dual_mov_b32 v114, v60
	s_and_saveexec_b32 s13, s60
	s_cbranch_execnz .LBB2_366
	s_branch .LBB2_374
.LBB2_352:                              ;   in Loop: Header=BB2_278 Depth=3
	s_mov_b32 s13, 0
	s_and_saveexec_b32 s41, s2
	s_cbranch_execnz .LBB2_375
	s_branch .LBB2_393
.LBB2_353:                              ;   in Loop: Header=BB2_278 Depth=3
	s_delay_alu instid0(VALU_DEP_1) | instskip(SKIP_1) | instid1(VALU_DEP_1)
	v_ashrrev_i32_e32 v11, 31, v9
	s_mov_b32 s41, exec_lo
	v_lshrrev_b32_e32 v11, 23, v11
	s_delay_alu instid0(VALU_DEP_1) | instskip(NEXT) | instid1(VALU_DEP_1)
	v_add_nc_u32_e32 v11, v9, v11
	v_and_b32_e32 v43, 0xfffffe00, v11
	v_dual_ashrrev_i32 v114, 9, v11 :: v_dual_sub_nc_u32 v11, v9, v36
	s_delay_alu instid0(VALU_DEP_2) | instskip(NEXT) | instid1(VALU_DEP_1)
	v_sub_nc_u32_e32 v44, v9, v43
	v_cmp_lt_i32_e32 vcc_lo, 15, v44
	s_delay_alu instid0(VALU_DEP_3) | instskip(NEXT) | instid1(VALU_DEP_4)
	v_add_co_ci_u32_e64 v45, null, v114, v62, vcc_lo
	v_cmpx_lt_i32_e32 15, v11
	s_cbranch_execz .LBB2_357
; %bb.354:                              ;   in Loop: Header=BB2_278 Depth=3
	s_trap 2
	ds_load_b64 v[116:117], v0
	v_add_nc_u64_e32 v[114:115], v[102:103], v[36:37]
	v_add_nc_u64_e32 v[118:119], v[112:113], v[36:37]
	s_mov_b32 s60, 0
	s_wait_dscnt 0x0
	v_add_nc_u64_e32 v[116:117], v[116:117], v[36:37]
.LBB2_355:                              ;   Parent Loop BB2_47 Depth=1
                                        ;     Parent Loop BB2_275 Depth=2
                                        ;       Parent Loop BB2_278 Depth=3
                                        ; =>      This Inner Loop Header: Depth=4
	global_load_b128 v[72:75], v[114:115], off th:TH_LOAD_NT
	global_load_b128 v[76:79], v[116:117], off th:TH_LOAD_NT
	v_sub_nc_u32_e32 v11, v11, v52
	s_wait_xcnt 0x1
	v_add_nc_u64_e32 v[114:115], v[114:115], v[52:53]
	s_wait_xcnt 0x0
	v_add_nc_u64_e32 v[116:117], v[116:117], v[52:53]
	s_wait_loadcnt 0x0
	v_dual_sub_nc_u32 v45, v45, v32 :: v_dual_mul_f32 v75, v75, v79
	v_dual_mul_f32 v72, v72, v76 :: v_dual_mul_f32 v74, v74, v78
	v_mul_f32_e32 v73, v73, v77
	v_cmp_gt_i32_e64 s13, 16, v11
	global_store_b128 v[118:119], v[72:75], off th:TH_STORE_NT
	s_wait_xcnt 0x0
	v_add_nc_u64_e32 v[118:119], v[118:119], v[52:53]
	s_or_b32 s60, s13, s60
	s_delay_alu instid0(SALU_CYCLE_1)
	s_and_not1_b32 exec_lo, exec_lo, s60
	s_cbranch_execnz .LBB2_355
; %bb.356:                              ;   in Loop: Header=BB2_278 Depth=3
	s_or_b32 exec_lo, exec_lo, s60
.LBB2_357:                              ;   in Loop: Header=BB2_278 Depth=3
	s_delay_alu instid0(SALU_CYCLE_1) | instskip(SKIP_3) | instid1(VALU_DEP_1)
	s_or_b32 exec_lo, exec_lo, s41
	v_dual_mov_b32 v11, 0 :: v_dual_bitop2_b32 v115, 12, v9 bitop3:0x40
	s_mov_b32 s60, 0
	s_mov_b32 s41, exec_lo
                                        ; implicit-def: $vgpr9
                                        ; implicit-def: $vgpr41
                                        ; implicit-def: $vgpr114
	v_cndmask_b32_e32 v42, v44, v115, vcc_lo
	s_delay_alu instid0(VALU_DEP_1)
	v_cmpx_ne_u32_e32 0, v42
	s_cbranch_execz .LBB2_365
; %bb.358:                              ;   in Loop: Header=BB2_278 Depth=3
	v_cmp_lt_i32_e64 s13, 0, v45
	s_mov_b32 s60, exec_lo
	v_dual_ashrrev_i32 v114, 31, v42 :: v_dual_sub_nc_u32 v115, v44, v115
	s_delay_alu instid0(VALU_DEP_1) | instskip(NEXT) | instid1(VALU_DEP_1)
	v_dual_cndmask_b32 v9, 0, v32, s13 :: v_dual_lshrrev_b32 v114, 23, v114
	v_dual_sub_nc_u32 v9, v9, v45 :: v_dual_add_nc_u32 v114, v42, v114
	s_delay_alu instid0(VALU_DEP_1) | instskip(NEXT) | instid1(VALU_DEP_2)
	v_lshl_add_u32 v9, v9, 5, v61
	v_and_b32_e32 v45, 0xfffffe00, v114
	s_delay_alu instid0(VALU_DEP_2) | instskip(NEXT) | instid1(VALU_DEP_1)
	v_dual_ashrrev_i32 v114, 9, v114 :: v_dual_ashrrev_i32 v11, 31, v9
	v_dual_sub_nc_u32 v44, v42, v45 :: v_dual_lshrrev_b32 v11, 27, v11
	s_delay_alu instid0(VALU_DEP_1) | instskip(NEXT) | instid1(VALU_DEP_1)
	v_add_nc_u32_e32 v11, v9, v11
	v_and_b32_e32 v116, 0xffffffe0, v11
	s_delay_alu instid0(VALU_DEP_1) | instskip(SKIP_2) | instid1(VALU_DEP_3)
	v_dual_sub_nc_u32 v46, v9, v116 :: v_dual_ashrrev_i32 v116, 5, v11
	v_cndmask_b32_e32 v115, 0, v115, vcc_lo
	v_cmp_lt_i32_e32 vcc_lo, 15, v44
	v_lshlrev_b32_e32 v9, 4, v46
	v_add_co_ci_u32_e64 v114, null, 0, v114, vcc_lo
	s_delay_alu instid0(VALU_DEP_2) | instskip(NEXT) | instid1(VALU_DEP_2)
	v_lshl_add_u32 v11, v116, 9, v9
	v_dual_sub_nc_u32 v47, v114, v116 :: v_dual_add_nc_u32 v43, v115, v43
	s_delay_alu instid0(VALU_DEP_2) | instskip(NEXT) | instid1(VALU_DEP_1)
	v_sub_nc_u32_e32 v9, v42, v11
	v_cmpx_lt_i32_e32 15, v9
	s_cbranch_execz .LBB2_362
; %bb.359:                              ;   in Loop: Header=BB2_278 Depth=3
	s_trap 2
	ds_load_b64 v[116:117], v0
	v_add_nc_u32_e32 v118, v11, v43
	s_mov_b32 s61, 0
	s_delay_alu instid0(VALU_DEP_1) | instskip(NEXT) | instid1(VALU_DEP_1)
	v_ashrrev_i32_e32 v119, 31, v118
	v_add_nc_u64_e32 v[114:115], v[118:119], v[102:103]
	s_wait_dscnt 0x0
	v_add_nc_u64_e32 v[116:117], v[116:117], v[118:119]
	v_add_nc_u64_e32 v[118:119], v[118:119], v[112:113]
.LBB2_360:                              ;   Parent Loop BB2_47 Depth=1
                                        ;     Parent Loop BB2_275 Depth=2
                                        ;       Parent Loop BB2_278 Depth=3
                                        ; =>      This Inner Loop Header: Depth=4
	global_load_b128 v[72:75], v[114:115], off th:TH_LOAD_NT
	global_load_b128 v[76:79], v[116:117], off th:TH_LOAD_NT
	v_sub_nc_u32_e32 v9, v9, v52
	s_wait_xcnt 0x1
	v_add_nc_u64_e32 v[114:115], v[114:115], v[52:53]
	s_wait_xcnt 0x0
	v_add_nc_u64_e32 v[116:117], v[116:117], v[52:53]
	v_sub_nc_u32_e32 v47, v47, v32
	s_wait_loadcnt 0x0
	v_dual_mul_f32 v72, v72, v76 :: v_dual_mul_f32 v73, v73, v77
	v_dual_mul_f32 v74, v74, v78 :: v_dual_mul_f32 v75, v75, v79
	v_cmp_gt_i32_e64 s13, 16, v9
	global_store_b128 v[118:119], v[72:75], off th:TH_STORE_NT
	s_wait_xcnt 0x0
	v_add_nc_u64_e32 v[118:119], v[118:119], v[52:53]
	s_or_b32 s61, s13, s61
	s_delay_alu instid0(SALU_CYCLE_1)
	s_and_not1_b32 exec_lo, exec_lo, s61
	s_cbranch_execnz .LBB2_360
; %bb.361:                              ;   in Loop: Header=BB2_278 Depth=3
	s_or_b32 exec_lo, exec_lo, s61
.LBB2_362:                              ;   in Loop: Header=BB2_278 Depth=3
	s_delay_alu instid0(SALU_CYCLE_1) | instskip(SKIP_3) | instid1(VALU_DEP_1)
	s_or_b32 exec_lo, exec_lo, s60
	v_dual_mov_b32 v11, 0 :: v_dual_bitop2_b32 v115, 12, v42 bitop3:0x40
	s_mov_b32 s60, 0
	s_mov_b32 s61, exec_lo
                                        ; implicit-def: $vgpr41
                                        ; implicit-def: $vgpr114
	v_cndmask_b32_e32 v9, v44, v115, vcc_lo
	s_delay_alu instid0(VALU_DEP_1)
	v_cmpx_ne_u32_e32 0, v9
	s_cbranch_execz .LBB2_364
; %bb.363:                              ;   in Loop: Header=BB2_278 Depth=3
	v_cmp_lt_i32_e64 s13, 0, v47
	s_mov_b32 s60, exec_lo
	v_dual_sub_nc_u32 v114, v44, v115 :: v_dual_cndmask_b32 v11, 0, v32, s13
	s_delay_alu instid0(VALU_DEP_1) | instskip(NEXT) | instid1(VALU_DEP_1)
	v_dual_cndmask_b32 v114, 0, v114 :: v_dual_sub_nc_u32 v11, v11, v47
	v_lshl_add_u32 v41, v11, 5, v46
	s_delay_alu instid0(VALU_DEP_1) | instskip(NEXT) | instid1(VALU_DEP_1)
	v_ashrrev_i32_e32 v11, 31, v41
	v_lshrrev_b32_e32 v11, 27, v11
	s_delay_alu instid0(VALU_DEP_1) | instskip(SKIP_1) | instid1(VALU_DEP_2)
	v_add_nc_u32_e32 v115, v41, v11
	v_add3_u32 v11, v45, v43, v114
	v_ashrrev_i32_e32 v114, 5, v115
.LBB2_364:                              ;   in Loop: Header=BB2_278 Depth=3
	s_or_b32 exec_lo, exec_lo, s61
	s_delay_alu instid0(SALU_CYCLE_1)
	s_and_b32 s60, s60, exec_lo
.LBB2_365:                              ;   in Loop: Header=BB2_278 Depth=3
	s_or_b32 exec_lo, exec_lo, s41
	s_and_saveexec_b32 s13, s60
	s_cbranch_execz .LBB2_374
.LBB2_366:                              ;   in Loop: Header=BB2_278 Depth=3
	v_ashrrev_i32_e32 v115, 31, v9
	s_mov_b32 s41, exec_lo
	s_delay_alu instid0(VALU_DEP_1) | instskip(NEXT) | instid1(VALU_DEP_1)
	v_lshrrev_b32_e32 v115, 24, v115
	v_add_nc_u32_e32 v115, v9, v115
	s_delay_alu instid0(VALU_DEP_1) | instskip(NEXT) | instid1(VALU_DEP_1)
	v_dual_ashrrev_i32 v44, 8, v115 :: v_dual_ashrrev_i32 v115, 31, v41
	v_dual_sub_nc_u32 v42, v44, v114 :: v_dual_lshrrev_b32 v43, 27, v115
	s_delay_alu instid0(VALU_DEP_1)
	v_cmpx_lt_i32_e32 0, v42
	s_cbranch_execz .LBB2_370
; %bb.367:                              ;   in Loop: Header=BB2_278 Depth=3
	s_delay_alu instid0(VALU_DEP_2) | instskip(SKIP_4) | instid1(VALU_DEP_1)
	v_dual_add_nc_u32 v115, v41, v43 :: v_dual_lshlrev_b32 v114, 8, v114
	s_trap 2
	ds_load_b64 v[116:117], v0
	s_mov_b32 s60, 0
	v_and_b32_e32 v115, 0x3fffffe0, v115
	v_sub_nc_u32_e32 v115, v41, v115
	s_delay_alu instid0(VALU_DEP_1) | instskip(NEXT) | instid1(VALU_DEP_1)
	v_lshlrev_b32_e32 v115, 2, v115
	v_add3_u32 v118, v115, v11, v114
	s_delay_alu instid0(VALU_DEP_1) | instskip(NEXT) | instid1(VALU_DEP_1)
	v_ashrrev_i32_e32 v119, 31, v118
	v_add_nc_u64_e32 v[114:115], v[118:119], v[102:103]
	s_wait_dscnt 0x0
	v_add_nc_u64_e32 v[116:117], v[116:117], v[118:119]
	v_add_nc_u64_e32 v[118:119], v[118:119], v[112:113]
.LBB2_368:                              ;   Parent Loop BB2_47 Depth=1
                                        ;     Parent Loop BB2_275 Depth=2
                                        ;       Parent Loop BB2_278 Depth=3
                                        ; =>      This Inner Loop Header: Depth=4
	s_clause 0x1
	flat_load_b32 v45, v[114:115] th:TH_LOAD_NT
	flat_load_b32 v46, v[114:115] offset:128 th:TH_LOAD_NT
	s_clause 0x1
	flat_load_b32 v47, v[116:117] th:TH_LOAD_NT
	flat_load_b32 v63, v[116:117] offset:128 th:TH_LOAD_NT
	v_sub_nc_u32_e32 v42, v42, v32
	s_wait_xcnt 0x2
	v_add_nc_u64_e32 v[114:115], v[114:115], v[54:55]
	s_wait_xcnt 0x0
	v_add_nc_u64_e32 v[116:117], v[116:117], v[54:55]
	s_wait_loadcnt_dscnt 0x101
	v_mul_f32_e32 v45, v45, v47
	s_wait_loadcnt_dscnt 0x0
	v_mul_f32_e32 v46, v46, v63
	v_cmp_gt_i32_e32 vcc_lo, 1, v42
	s_clause 0x1
	flat_store_b32 v[118:119], v45 th:TH_STORE_NT
	flat_store_b32 v[118:119], v46 offset:128 th:TH_STORE_NT
	s_wait_xcnt 0x0
	v_add_nc_u64_e32 v[118:119], v[118:119], v[54:55]
	s_or_b32 s60, vcc_lo, s60
	s_delay_alu instid0(SALU_CYCLE_1)
	s_and_not1_b32 exec_lo, exec_lo, s60
	s_cbranch_execnz .LBB2_368
; %bb.369:                              ;   in Loop: Header=BB2_278 Depth=3
	s_or_b32 exec_lo, exec_lo, s60
.LBB2_370:                              ;   in Loop: Header=BB2_278 Depth=3
	s_delay_alu instid0(SALU_CYCLE_1) | instskip(SKIP_1) | instid1(VALU_DEP_1)
	s_or_b32 exec_lo, exec_lo, s41
	v_lshlrev_b32_e32 v114, 8, v44
	v_cmp_ne_u32_e32 vcc_lo, v9, v114
	s_and_b32 exec_lo, exec_lo, vcc_lo
	s_cbranch_execz .LBB2_374
; %bb.371:                              ;   in Loop: Header=BB2_278 Depth=3
	v_dual_add_nc_u32 v115, v41, v43 :: v_dual_lshlrev_b32 v116, 5, v42
	s_delay_alu instid0(VALU_DEP_1) | instskip(NEXT) | instid1(VALU_DEP_1)
	v_and_b32_e32 v115, 0xffffffe0, v115
	v_sub_nc_u32_e32 v115, v41, v115
	s_delay_alu instid0(VALU_DEP_1) | instskip(NEXT) | instid1(VALU_DEP_1)
	v_sub_nc_u32_e32 v115, v115, v116
	v_ashrrev_i32_e32 v116, 31, v115
	s_delay_alu instid0(VALU_DEP_1) | instskip(NEXT) | instid1(VALU_DEP_1)
	v_lshrrev_b32_e32 v116, 27, v116
	v_add_nc_u32_e32 v116, v115, v116
	s_delay_alu instid0(VALU_DEP_1) | instskip(NEXT) | instid1(VALU_DEP_1)
	v_and_b32_e32 v117, 0x3fffffe0, v116
	v_dual_lshlrev_b32 v116, 2, v116 :: v_dual_sub_nc_u32 v115, v115, v117
	s_delay_alu instid0(VALU_DEP_1) | instskip(NEXT) | instid1(VALU_DEP_2)
	v_and_b32_e32 v116, 0xffffff80, v116
	v_lshlrev_b32_e32 v115, 2, v115
	s_delay_alu instid0(VALU_DEP_1) | instskip(NEXT) | instid1(VALU_DEP_1)
	v_add3_u32 v114, v116, v115, v114
	v_sub_nc_u32_e32 v9, v9, v114
	s_delay_alu instid0(VALU_DEP_1)
	v_cmp_lt_i32_e32 vcc_lo, 3, v9
	s_and_b32 exec_lo, exec_lo, vcc_lo
	s_cbranch_execz .LBB2_374
; %bb.372:                              ;   in Loop: Header=BB2_278 Depth=3
	s_trap 2
	ds_load_b64 v[116:117], v0
	v_add_nc_u32_e32 v118, v114, v11
	s_mov_b32 s41, 0
	s_delay_alu instid0(VALU_DEP_1) | instskip(NEXT) | instid1(VALU_DEP_1)
	v_ashrrev_i32_e32 v119, 31, v118
	v_add_nc_u64_e32 v[102:103], v[118:119], v[102:103]
	v_add_nc_u64_e32 v[112:113], v[118:119], v[112:113]
	s_wait_dscnt 0x0
	v_add_nc_u64_e32 v[114:115], v[116:117], v[118:119]
.LBB2_373:                              ;   Parent Loop BB2_47 Depth=1
                                        ;     Parent Loop BB2_275 Depth=2
                                        ;       Parent Loop BB2_278 Depth=3
                                        ; =>      This Inner Loop Header: Depth=4
	flat_load_b32 v11, v[102:103] th:TH_LOAD_NT
	flat_load_b32 v116, v[114:115] th:TH_LOAD_NT
	v_sub_nc_u32_e32 v9, v9, v64
	s_wait_xcnt 0x1
	v_add_nc_u64_e32 v[102:103], v[102:103], v[64:65]
	s_wait_xcnt 0x0
	v_add_nc_u64_e32 v[114:115], v[114:115], v[64:65]
	v_cmp_gt_i32_e32 vcc_lo, 4, v9
	s_or_b32 s41, vcc_lo, s41
	s_wait_loadcnt_dscnt 0x0
	v_mul_f32_e32 v11, v11, v116
	flat_store_b32 v[112:113], v11 th:TH_STORE_NT
	s_wait_xcnt 0x0
	v_add_nc_u64_e32 v[112:113], v[112:113], v[64:65]
	s_and_not1_b32 exec_lo, exec_lo, s41
	s_cbranch_execnz .LBB2_373
.LBB2_374:                              ;   in Loop: Header=BB2_278 Depth=3
	s_or_b32 exec_lo, exec_lo, s13
	v_cmp_lt_i32_e64 s13, 0, v2
	s_and_saveexec_b32 s41, s2
	s_cbranch_execz .LBB2_393
.LBB2_375:                              ;   in Loop: Header=BB2_278 Depth=3
	s_and_saveexec_b32 s60, s3
	s_delay_alu instid0(SALU_CYCLE_1)
	s_xor_b32 s60, exec_lo, s60
	s_cbranch_execz .LBB2_390
; %bb.376:                              ;   in Loop: Header=BB2_278 Depth=3
	s_and_saveexec_b32 s61, s6
	s_cbranch_execz .LBB2_389
; %bb.377:                              ;   in Loop: Header=BB2_278 Depth=3
	s_mov_b32 s63, exec_lo
	s_mov_b32 s62, exec_lo
	v_mbcnt_lo_u32_b32 v2, s63, 0
	global_wb scope:SCOPE_DEV
	s_wait_storecnt 0x0
	s_wait_loadcnt_dscnt 0x0
	global_inv scope:SCOPE_DEV
	v_cmpx_eq_u32_e32 0, v2
	s_cbranch_execz .LBB2_379
; %bb.378:                              ;   in Loop: Header=BB2_278 Depth=3
	s_bcnt1_i32_b32 s63, s63
	s_delay_alu instid0(SALU_CYCLE_1)
	v_mov_b32_e32 v2, s63
	s_wait_loadcnt 0x0
	ds_add_u64 v0, v[2:3]
	s_trap 2
.LBB2_379:                              ;   in Loop: Header=BB2_278 Depth=3
	s_or_b32 exec_lo, exec_lo, s62
	s_trap 2
	ds_load_b64 v[102:103], v0
	s_wait_dscnt 0x0
	v_add_nc_u64_e32 v[12:13], v[12:13], v[32:33]
	s_mov_b32 s62, exec_lo
	s_delay_alu instid0(VALU_DEP_1)
	v_cmpx_lt_u64_e64 v[102:103], v[12:13]
	s_cbranch_execz .LBB2_388
; %bb.380:                              ;   in Loop: Header=BB2_278 Depth=3
	s_mov_b32 s63, 0
	s_mov_b32 s74, 0
                                        ; implicit-def: $sgpr72
                                        ; implicit-def: $sgpr73
	s_branch .LBB2_382
.LBB2_381:                              ;   in Loop: Header=BB2_382 Depth=4
	s_or_b32 exec_lo, exec_lo, s76
	s_delay_alu instid0(SALU_CYCLE_1) | instskip(NEXT) | instid1(SALU_CYCLE_1)
	s_and_b32 s75, exec_lo, s77
	s_or_b32 s63, s75, s63
	s_and_not1_b32 s72, s72, exec_lo
	s_and_b32 s75, s73, exec_lo
	s_delay_alu instid0(SALU_CYCLE_1)
	s_or_b32 s72, s72, s75
	s_and_not1_b32 exec_lo, exec_lo, s63
	s_cbranch_execz .LBB2_386
.LBB2_382:                              ;   Parent Loop BB2_47 Depth=1
                                        ;     Parent Loop BB2_275 Depth=2
                                        ;       Parent Loop BB2_278 Depth=3
                                        ; =>      This Inner Loop Header: Depth=4
	s_add_co_i32 s74, s74, 1
	s_delay_alu instid0(SALU_CYCLE_1) | instskip(SKIP_1) | instid1(SALU_CYCLE_1)
	s_cmp_lg_u32 s74, 0x2710
	s_cselect_b32 s75, -1, 0
	s_and_b32 vcc_lo, exec_lo, s75
	s_cbranch_vccz .LBB2_384
; %bb.383:                              ;   in Loop: Header=BB2_382 Depth=4
	s_mov_b32 s77, -1
	s_or_b32 s73, s73, exec_lo
	s_and_saveexec_b32 s76, s75
	s_cbranch_execz .LBB2_381
	s_branch .LBB2_385
.LBB2_384:                              ;   in Loop: Header=BB2_382 Depth=4
	s_trap 2
	ds_load_b64 v[102:103], v0
	s_and_not1_b32 s75, s75, exec_lo
	s_mov_b32 s74, 0
	s_wait_loadcnt_dscnt 0x0
	flat_load_b32 v2, v[102:103] scope:SCOPE_SYS
	s_wait_loadcnt_dscnt 0x0
	global_inv scope:SCOPE_SYS
	v_cmp_eq_u32_e32 vcc_lo, 0, v2
	s_and_b32 s76, vcc_lo, exec_lo
	s_delay_alu instid0(SALU_CYCLE_1)
	s_or_b32 s75, s75, s76
	s_mov_b32 s77, -1
	s_or_b32 s73, s73, exec_lo
	s_and_saveexec_b32 s76, s75
	s_cbranch_execz .LBB2_381
.LBB2_385:                              ;   in Loop: Header=BB2_382 Depth=4
	s_sleep 1
	s_trap 2
	ds_load_b64 v[102:103], v0
	s_wait_dscnt 0x0
	s_and_not1_b32 s73, s73, exec_lo
	v_cmp_ge_u64_e32 vcc_lo, v[102:103], v[12:13]
	s_or_not1_b32 s77, vcc_lo, exec_lo
	s_branch .LBB2_381
.LBB2_386:                              ;   in Loop: Header=BB2_278 Depth=3
	s_or_b32 exec_lo, exec_lo, s63
	s_and_saveexec_b32 s63, s72
	s_delay_alu instid0(SALU_CYCLE_1)
	s_xor_b32 s63, exec_lo, s63
	s_cbranch_execz .LBB2_388
; %bb.387:                              ;   in Loop: Header=BB2_278 Depth=3
	ds_store_b32 v0, v57
	s_trap 2
.LBB2_388:                              ;   in Loop: Header=BB2_278 Depth=3
	s_or_b32 exec_lo, exec_lo, s62
	;;#ASMSTART
	s_wakeup
	;;#ASMEND
.LBB2_389:                              ;   in Loop: Header=BB2_278 Depth=3
	s_or_b32 exec_lo, exec_lo, s61
.LBB2_390:                              ;   in Loop: Header=BB2_278 Depth=3
	s_and_not1_saveexec_b32 s60, s60
	s_cbranch_execz .LBB2_392
; %bb.391:                              ;   in Loop: Header=BB2_278 Depth=3
	global_wb scope:SCOPE_DEV
	s_wait_storecnt 0x0
	s_wait_loadcnt_dscnt 0x0
	global_inv scope:SCOPE_DEV
	s_barrier_signal -1
	s_barrier_wait -1
.LBB2_392:                              ;   in Loop: Header=BB2_278 Depth=3
	s_or_b32 exec_lo, exec_lo, s60
.LBB2_393:                              ;   in Loop: Header=BB2_278 Depth=3
	s_delay_alu instid0(SALU_CYCLE_1) | instskip(SKIP_2) | instid1(SALU_CYCLE_1)
	s_or_b32 exec_lo, exec_lo, s41
	v_and_b32_e32 v9, 16, v30
	s_and_saveexec_b32 s41, s7
	s_xor_b32 s41, exec_lo, s41
	s_cbranch_execz .LBB2_397
; %bb.394:                              ;   in Loop: Header=BB2_278 Depth=3
	v_and_b32_e32 v2, 16, v30
	v_and_b32_e32 v9, 16, v30
	s_delay_alu instid0(VALU_DEP_2) | instskip(SKIP_1) | instid1(SALU_CYCLE_1)
	v_cmp_ne_u32_e32 vcc_lo, 0, v2
	s_and_b32 s60, vcc_lo, s13
	s_and_saveexec_b32 s13, s60
	s_cbranch_execz .LBB2_396
; %bb.395:                              ;   in Loop: Header=BB2_278 Depth=3
	v_mov_b32_e32 v9, 1
	global_wb scope:SCOPE_SYS
	s_wait_storecnt 0x0
	s_wait_loadcnt_dscnt 0x0
	global_inv scope:SCOPE_SYS
.LBB2_396:                              ;   in Loop: Header=BB2_278 Depth=3
	s_or_b32 exec_lo, exec_lo, s13
.LBB2_397:                              ;   in Loop: Header=BB2_278 Depth=3
	s_and_not1_saveexec_b32 s13, s41
	s_cbranch_execz .LBB2_416
; %bb.398:                              ;   in Loop: Header=BB2_278 Depth=3
	s_and_saveexec_b32 s41, s3
	s_delay_alu instid0(SALU_CYCLE_1)
	s_xor_b32 s41, exec_lo, s41
	s_cbranch_execz .LBB2_413
; %bb.399:                              ;   in Loop: Header=BB2_278 Depth=3
	s_and_saveexec_b32 s60, s6
	s_cbranch_execz .LBB2_412
; %bb.400:                              ;   in Loop: Header=BB2_278 Depth=3
	s_mov_b32 s62, exec_lo
	s_mov_b32 s61, exec_lo
	v_mbcnt_lo_u32_b32 v2, s62, 0
	;;#ASMSTART
	s_waitcnt lgkmcnt(0) vmcnt(0)
	;;#ASMEND
	s_delay_alu instid0(VALU_DEP_1)
	v_cmpx_eq_u32_e32 0, v2
	s_cbranch_execz .LBB2_402
; %bb.401:                              ;   in Loop: Header=BB2_278 Depth=3
	s_bcnt1_i32_b32 s62, s62
	s_delay_alu instid0(SALU_CYCLE_1)
	v_mov_b32_e32 v2, s62
	s_wait_storecnt 0x0
	s_wait_loadcnt_dscnt 0x0
	ds_add_u64 v0, v[2:3]
	s_trap 2
.LBB2_402:                              ;   in Loop: Header=BB2_278 Depth=3
	s_or_b32 exec_lo, exec_lo, s61
	s_trap 2
	ds_load_b64 v[102:103], v0
	s_wait_dscnt 0x0
	v_add_nc_u64_e32 v[12:13], v[12:13], v[32:33]
	s_mov_b32 s61, exec_lo
	s_delay_alu instid0(VALU_DEP_1)
	v_cmpx_lt_u64_e64 v[102:103], v[12:13]
	s_cbranch_execz .LBB2_411
; %bb.403:                              ;   in Loop: Header=BB2_278 Depth=3
	s_mov_b32 s62, 0
	s_mov_b32 s73, 0
                                        ; implicit-def: $sgpr63
                                        ; implicit-def: $sgpr72
	s_branch .LBB2_405
.LBB2_404:                              ;   in Loop: Header=BB2_405 Depth=4
	s_or_b32 exec_lo, exec_lo, s75
	s_delay_alu instid0(SALU_CYCLE_1) | instskip(NEXT) | instid1(SALU_CYCLE_1)
	s_and_b32 s74, exec_lo, s76
	s_or_b32 s62, s74, s62
	s_and_not1_b32 s63, s63, exec_lo
	s_and_b32 s74, s72, exec_lo
	s_delay_alu instid0(SALU_CYCLE_1)
	s_or_b32 s63, s63, s74
	s_and_not1_b32 exec_lo, exec_lo, s62
	s_cbranch_execz .LBB2_409
.LBB2_405:                              ;   Parent Loop BB2_47 Depth=1
                                        ;     Parent Loop BB2_275 Depth=2
                                        ;       Parent Loop BB2_278 Depth=3
                                        ; =>      This Inner Loop Header: Depth=4
	s_add_co_i32 s73, s73, 1
	s_delay_alu instid0(SALU_CYCLE_1) | instskip(SKIP_1) | instid1(SALU_CYCLE_1)
	s_cmp_lg_u32 s73, 0x2710
	s_cselect_b32 s74, -1, 0
	s_and_b32 vcc_lo, exec_lo, s74
	s_cbranch_vccz .LBB2_407
; %bb.406:                              ;   in Loop: Header=BB2_405 Depth=4
	s_mov_b32 s76, -1
	s_or_b32 s72, s72, exec_lo
	s_and_saveexec_b32 s75, s74
	s_cbranch_execz .LBB2_404
	s_branch .LBB2_408
.LBB2_407:                              ;   in Loop: Header=BB2_405 Depth=4
	s_trap 2
	ds_load_b64 v[102:103], v0
	s_and_not1_b32 s74, s74, exec_lo
	s_mov_b32 s73, 0
	s_wait_storecnt 0x0
	s_wait_loadcnt_dscnt 0x0
	flat_load_b32 v2, v[102:103] scope:SCOPE_SYS
	s_wait_loadcnt_dscnt 0x0
	global_inv scope:SCOPE_SYS
	v_cmp_eq_u32_e32 vcc_lo, 0, v2
	s_and_b32 s75, vcc_lo, exec_lo
	s_delay_alu instid0(SALU_CYCLE_1)
	s_or_b32 s74, s74, s75
	s_mov_b32 s76, -1
	s_or_b32 s72, s72, exec_lo
	s_and_saveexec_b32 s75, s74
	s_cbranch_execz .LBB2_404
.LBB2_408:                              ;   in Loop: Header=BB2_405 Depth=4
	s_sleep 1
	s_trap 2
	ds_load_b64 v[102:103], v0
	s_wait_dscnt 0x0
	s_and_not1_b32 s72, s72, exec_lo
	v_cmp_ge_u64_e32 vcc_lo, v[102:103], v[12:13]
	s_or_not1_b32 s76, vcc_lo, exec_lo
	s_branch .LBB2_404
.LBB2_409:                              ;   in Loop: Header=BB2_278 Depth=3
	s_or_b32 exec_lo, exec_lo, s62
	s_and_saveexec_b32 s62, s63
	s_delay_alu instid0(SALU_CYCLE_1)
	s_xor_b32 s62, exec_lo, s62
	s_cbranch_execz .LBB2_411
; %bb.410:                              ;   in Loop: Header=BB2_278 Depth=3
	ds_store_b32 v0, v57
	s_trap 2
.LBB2_411:                              ;   in Loop: Header=BB2_278 Depth=3
	s_or_b32 exec_lo, exec_lo, s61
	;;#ASMSTART
	s_wakeup
	;;#ASMEND
.LBB2_412:                              ;   in Loop: Header=BB2_278 Depth=3
	s_or_b32 exec_lo, exec_lo, s60
.LBB2_413:                              ;   in Loop: Header=BB2_278 Depth=3
	s_and_not1_saveexec_b32 s41, s41
	s_cbranch_execz .LBB2_415
; %bb.414:                              ;   in Loop: Header=BB2_278 Depth=3
	;;#ASMSTART
	s_waitcnt lgkmcnt(0) vmcnt(0)
	;;#ASMEND
	s_barrier_signal -1
	s_barrier_wait -1
.LBB2_415:                              ;   in Loop: Header=BB2_278 Depth=3
	s_or_b32 exec_lo, exec_lo, s41
.LBB2_416:                              ;   in Loop: Header=BB2_278 Depth=3
	s_delay_alu instid0(SALU_CYCLE_1) | instskip(SKIP_2) | instid1(SALU_CYCLE_1)
	s_or_b32 exec_lo, exec_lo, s13
	v_cmp_ne_u32_e32 vcc_lo, 0, v9
	s_xor_b32 s13, s4, -1
	s_and_b32 s41, vcc_lo, s13
	s_delay_alu instid0(SALU_CYCLE_1)
	s_and_saveexec_b32 s13, s41
	s_cbranch_execz .LBB2_418
; %bb.417:                              ;   in Loop: Header=BB2_278 Depth=3
	global_wb scope:SCOPE_SYS
	s_wait_storecnt 0x0
	s_wait_loadcnt_dscnt 0x0
	flat_store_b32 v[26:27], v57 scope:SCOPE_SYS
.LBB2_418:                              ;   in Loop: Header=BB2_278 Depth=3
	s_wait_xcnt 0x0
	s_or_b32 exec_lo, exec_lo, s13
	v_and_b32_e32 v2, 48, v30
	s_mov_b32 s13, exec_lo
	s_delay_alu instid0(VALU_DEP_1)
	v_cmpx_ne_u32_e32 0, v2
	s_cbranch_execz .LBB2_277
; %bb.419:                              ;   in Loop: Header=BB2_278 Depth=3
	v_add_nc_u64_e32 v[86:87], 2, v[86:87]
	global_wb scope:SCOPE_SYS
	s_wait_storecnt 0x0
	s_wait_loadcnt_dscnt 0x0
	flat_store_b64 v[20:21], v[86:87] scope:SCOPE_SYS
	s_branch .LBB2_277
.LBB2_420:                              ;   in Loop: Header=BB2_275 Depth=2
	s_or_b32 exec_lo, exec_lo, s18
.LBB2_421:                              ;   in Loop: Header=BB2_275 Depth=2
	s_delay_alu instid0(SALU_CYCLE_1) | instskip(NEXT) | instid1(SALU_CYCLE_1)
	s_or_b32 exec_lo, exec_lo, s15
	s_mov_b32 s15, exec_lo
	v_cmpx_gt_i32_e32 2, v2
	s_cbranch_execz .LBB2_274
; %bb.422:                              ;   in Loop: Header=BB2_275 Depth=2
	v_cmp_eq_u32_e64 s27, 0, v2
	s_mov_b32 s18, 0
	s_branch .LBB2_424
.LBB2_423:                              ;   in Loop: Header=BB2_424 Depth=3
	s_wait_xcnt 0x0
	s_or_b32 exec_lo, exec_lo, s13
	v_add_nc_u32_e32 v10, v8, v10
	s_mov_b32 s27, 0
	s_and_not1_b32 exec_lo, exec_lo, s18
	s_cbranch_execz .LBB2_273
.LBB2_424:                              ;   Parent Loop BB2_47 Depth=1
                                        ;     Parent Loop BB2_275 Depth=2
                                        ; =>    This Loop Header: Depth=3
                                        ;         Child Loop BB2_430 Depth 4
                                        ;         Child Loop BB2_458 Depth 4
	;; [unrolled: 1-line block ×3, first 2 shown]
	s_delay_alu instid0(VALU_DEP_1) | instskip(SKIP_2) | instid1(VALU_DEP_2)
	v_sub_nc_u32_e32 v2, v40, v10
	v_and_b32_e32 v9, 12, v30
	s_mov_b32 s40, exec_lo
	v_min_i32_e32 v8, v8, v2
	s_delay_alu instid0(VALU_DEP_2)
	v_cmpx_ne_u32_e32 0, v9
	s_cbranch_execz .LBB2_450
; %bb.425:                              ;   in Loop: Header=BB2_424 Depth=3
	v_and_b32_e32 v2, 8, v30
	v_add_nc_u64_e32 v[100:101], 2, v[86:87]
	s_mov_b32 s41, exec_lo
	s_wait_loadcnt_dscnt 0x1
	s_delay_alu instid0(VALU_DEP_2) | instskip(NEXT) | instid1(VALU_DEP_1)
	v_add_nc_u64_e32 v[102:103], v[28:29], v[2:3]
	v_cmpx_lt_u64_e64 v[102:103], v[100:101]
	s_cbranch_execz .LBB2_437
; %bb.426:                              ;   in Loop: Header=BB2_424 Depth=3
	v_and_b32_e32 v9, 64, v30
	s_mov_b32 s60, 0
	s_mov_b32 s72, 0
                                        ; implicit-def: $sgpr61
                                        ; implicit-def: $sgpr62
                                        ; implicit-def: $sgpr63
	s_delay_alu instid0(VALU_DEP_1)
	v_cmp_eq_u32_e32 vcc_lo, 0, v9
	s_branch .LBB2_430
.LBB2_427:                              ;   in Loop: Header=BB2_430 Depth=4
	s_wait_loadcnt_dscnt 0x0
	v_add_nc_u64_e32 v[102:103], v[28:29], v[2:3]
	s_or_b32 s75, s75, exec_lo
	s_delay_alu instid0(VALU_DEP_1)
	v_cmp_ge_u64_e64 s13, v[102:103], v[100:101]
	s_or_not1_b32 s74, s13, exec_lo
.LBB2_428:                              ;   in Loop: Header=BB2_430 Depth=4
	s_or_b32 exec_lo, exec_lo, s77
	s_delay_alu instid0(SALU_CYCLE_1)
	s_and_not1_b32 s13, s63, exec_lo
	s_and_b32 s63, s75, exec_lo
	s_and_not1_b32 s62, s62, exec_lo
	s_and_b32 s74, s74, exec_lo
	s_or_b32 s63, s13, s63
	s_or_b32 s62, s62, s74
.LBB2_429:                              ;   in Loop: Header=BB2_430 Depth=4
	s_or_b32 exec_lo, exec_lo, s73
	s_delay_alu instid0(SALU_CYCLE_1) | instskip(NEXT) | instid1(SALU_CYCLE_1)
	s_and_b32 s13, exec_lo, s62
	s_or_b32 s60, s13, s60
	s_and_not1_b32 s13, s61, exec_lo
	s_and_b32 s61, s63, exec_lo
	s_delay_alu instid0(SALU_CYCLE_1)
	s_or_b32 s61, s13, s61
	s_and_not1_b32 exec_lo, exec_lo, s60
	s_cbranch_execz .LBB2_434
.LBB2_430:                              ;   Parent Loop BB2_47 Depth=1
                                        ;     Parent Loop BB2_275 Depth=2
                                        ;       Parent Loop BB2_424 Depth=3
                                        ; =>      This Inner Loop Header: Depth=4
	s_sleep 1
	s_wait_loadcnt_dscnt 0x0
	flat_load_b64 v[28:29], v[20:21] scope:SCOPE_SYS
	s_or_b32 s63, s63, exec_lo
	s_or_b32 s62, s62, exec_lo
                                        ; implicit-def: $vgpr9
	s_wait_xcnt 0x0
	s_and_saveexec_b32 s73, vcc_lo
	s_cbranch_execz .LBB2_429
; %bb.431:                              ;   in Loop: Header=BB2_430 Depth=4
	s_cmp_lt_i32 s72, 0x270f
	s_mov_b32 s74, -1
	s_cselect_b32 s76, -1, 0
	s_cmp_gt_i32 s72, 0x270e
	s_cbranch_scc0 .LBB2_433
; %bb.432:                              ;   in Loop: Header=BB2_430 Depth=4
	s_trap 2
	ds_load_b64 v[102:103], v0
	s_and_not1_b32 s72, s76, exec_lo
	s_mov_b32 s75, 0
	s_wait_storecnt 0x0
	s_wait_loadcnt_dscnt 0x0
	flat_load_b32 v9, v[102:103] scope:SCOPE_SYS
	s_wait_loadcnt_dscnt 0x0
	global_inv scope:SCOPE_SYS
	v_cmp_eq_u32_e64 s13, 0, v9
	s_and_b32 s13, s13, exec_lo
	s_delay_alu instid0(SALU_CYCLE_1)
	s_or_b32 s76, s72, s13
	s_mov_b32 s72, 0
	s_and_saveexec_b32 s77, s76
	s_cbranch_execz .LBB2_428
	s_branch .LBB2_427
.LBB2_433:                              ;   in Loop: Header=BB2_430 Depth=4
	s_add_co_i32 s72, s72, 1
	s_mov_b32 s75, -1
                                        ; implicit-def: $vgpr9
	s_and_saveexec_b32 s77, s76
	s_cbranch_execz .LBB2_428
	s_branch .LBB2_427
.LBB2_434:                              ;   in Loop: Header=BB2_424 Depth=3
	s_or_b32 exec_lo, exec_lo, s60
	s_xor_b32 s13, s61, -1
	s_delay_alu instid0(SALU_CYCLE_1) | instskip(NEXT) | instid1(SALU_CYCLE_1)
	s_and_saveexec_b32 s60, s13
	s_xor_b32 s13, exec_lo, s60
	s_cbranch_execz .LBB2_436
; %bb.435:                              ;   in Loop: Header=BB2_424 Depth=3
	v_or_b32_e32 v30, 64, v30
	s_wait_storecnt 0x0
	s_wait_loadcnt_dscnt 0x0
	ds_store_b32 v0, v9
	s_trap 2
.LBB2_436:                              ;   in Loop: Header=BB2_424 Depth=3
	s_or_b32 exec_lo, exec_lo, s13
.LBB2_437:                              ;   in Loop: Header=BB2_424 Depth=3
	s_delay_alu instid0(SALU_CYCLE_1) | instskip(SKIP_3) | instid1(VALU_DEP_1)
	s_or_b32 exec_lo, exec_lo, s41
	v_and_b32_e32 v9, 0x108, v30
	s_mov_b32 s13, exec_lo
	;;#ASMSTART
	s_wakeup
	;;#ASMEND
                                        ; implicit-def: $vgpr102_vgpr103
	v_cmpx_ne_u32_e32 0x108, v9
	s_xor_b32 s13, exec_lo, s13
; %bb.438:                              ;   in Loop: Header=BB2_424 Depth=3
	v_dual_mov_b32 v103, v3 :: v_dual_bitop2_b32 v102, 7, v86 bitop3:0x40
                                        ; implicit-def: $vgpr86_vgpr87
; %bb.439:                              ;   in Loop: Header=BB2_424 Depth=3
	s_and_not1_saveexec_b32 s13, s13
	s_cbranch_execz .LBB2_441
; %bb.440:                              ;   in Loop: Header=BB2_424 Depth=3
	v_dual_ashrrev_i32 v9, 31, v8 :: v_dual_bitop2_b32 v102, 7, v86 bitop3:0x40
	v_mov_b32_e32 v103, v3
	s_delay_alu instid0(VALU_DEP_2) | instskip(NEXT) | instid1(VALU_DEP_3)
	v_mad_nc_u64_u32 v[86:87], v102, 24, v[6:7]
	v_lshlrev_b64_e32 v[112:113], 2, v[8:9]
	flat_store_b64 v[86:87], v[112:113] offset:8
.LBB2_441:                              ;   in Loop: Header=BB2_424 Depth=3
	s_wait_xcnt 0x0
	s_or_b32 exec_lo, exec_lo, s13
	v_and_b32_e32 v9, 0x100, v30
	s_mov_b32 s13, -1
	s_mov_b32 s41, exec_lo
                                        ; implicit-def: $vgpr86_vgpr87
	s_delay_alu instid0(VALU_DEP_1)
	v_cmpx_ne_u32_e32 0, v9
	s_cbranch_execz .LBB2_445
; %bb.442:                              ;   in Loop: Header=BB2_424 Depth=3
	v_mad_nc_u64_u32 v[112:113], v102, 24, v[6:7]
	s_mov_b32 s60, exec_lo
                                        ; implicit-def: $vgpr86_vgpr87
	s_delay_alu instid0(VALU_DEP_1)
	v_mad_u32 v113, v103, 24, v113
	flat_load_b32 v9, v[112:113]
	s_wait_loadcnt_dscnt 0x0
	v_cmp_ne_u32_e32 vcc_lo, 1, v9
	s_wait_xcnt 0x0
	v_cmpx_eq_u32_e32 1, v9
	s_cbranch_execz .LBB2_444
; %bb.443:                              ;   in Loop: Header=BB2_424 Depth=3
	flat_load_b32 v86, v[112:113] offset:4 scope:SCOPE_SYS
	s_wait_loadcnt_dscnt 0x0
	v_ashrrev_i32_e32 v87, 31, v86
	s_delay_alu instid0(VALU_DEP_1)
	v_lshrrev_b64 v[86:87], 2, v[86:87]
.LBB2_444:                              ;   in Loop: Header=BB2_424 Depth=3
	s_wait_xcnt 0x0
	s_or_b32 exec_lo, exec_lo, s60
	s_delay_alu instid0(SALU_CYCLE_1)
	s_or_not1_b32 s13, vcc_lo, exec_lo
.LBB2_445:                              ;   in Loop: Header=BB2_424 Depth=3
	s_or_b32 exec_lo, exec_lo, s41
	s_and_saveexec_b32 s41, s13
; %bb.446:                              ;   in Loop: Header=BB2_424 Depth=3
	v_mul_u64_e32 v[86:87], v[102:103], v[22:23]
; %bb.447:                              ;   in Loop: Header=BB2_424 Depth=3
	s_or_b32 exec_lo, exec_lo, s41
	v_cmp_eq_u32_e32 vcc_lo, 0, v2
	v_and_b32_e32 v9, 0x2000, v30
	s_delay_alu instid0(VALU_DEP_3) | instskip(SKIP_2) | instid1(VALU_DEP_1)
	v_lshl_add_u64 v[86:87], v[86:87], 2, v[24:25]
	s_mov_b32 s13, exec_lo
	v_cndmask_b32_e32 v2, 0xc8, v58, vcc_lo
	v_add_nc_u32_e32 v2, v0, v2
	ds_store_b64 v2, v[86:87] offset:584
	v_cmpx_ne_u32_e32 0, v9
	s_cbranch_execz .LBB2_449
; %bb.448:                              ;   in Loop: Header=BB2_424 Depth=3
	ds_load_b64 v[86:87], v0 offset:872
	s_wait_dscnt 0x0
	v_add_nc_u64_e32 v[86:87], 1, v[86:87]
	ds_store_b64 v0, v[86:87] offset:872
.LBB2_449:                              ;   in Loop: Header=BB2_424 Depth=3
	s_or_b32 exec_lo, exec_lo, s13
	v_mov_b64_e32 v[86:87], v[100:101]
.LBB2_450:                              ;   in Loop: Header=BB2_424 Depth=3
	s_or_b32 exec_lo, exec_lo, s40
	s_xor_b32 s13, s27, -1
	s_delay_alu instid0(SALU_CYCLE_1) | instskip(NEXT) | instid1(SALU_CYCLE_1)
	s_and_b32 s13, exec_lo, s13
	s_or_b32 s18, s13, s18
	s_and_saveexec_b32 s13, s2
	s_cbranch_execz .LBB2_469
; %bb.451:                              ;   in Loop: Header=BB2_424 Depth=3
	s_and_saveexec_b32 s27, s3
	s_delay_alu instid0(SALU_CYCLE_1)
	s_xor_b32 s27, exec_lo, s27
	s_cbranch_execz .LBB2_466
; %bb.452:                              ;   in Loop: Header=BB2_424 Depth=3
	s_and_saveexec_b32 s40, s6
	s_cbranch_execz .LBB2_465
; %bb.453:                              ;   in Loop: Header=BB2_424 Depth=3
	s_mov_b32 s60, exec_lo
	s_mov_b32 s41, exec_lo
	v_mbcnt_lo_u32_b32 v2, s60, 0
	global_wb scope:SCOPE_DEV
	s_wait_storecnt 0x0
	s_wait_loadcnt_dscnt 0x0
	global_inv scope:SCOPE_DEV
	v_cmpx_eq_u32_e32 0, v2
	s_cbranch_execz .LBB2_455
; %bb.454:                              ;   in Loop: Header=BB2_424 Depth=3
	s_bcnt1_i32_b32 s60, s60
	s_delay_alu instid0(SALU_CYCLE_1)
	v_mov_b32_e32 v2, s60
	s_wait_loadcnt 0x0
	ds_add_u64 v0, v[2:3]
	s_trap 2
.LBB2_455:                              ;   in Loop: Header=BB2_424 Depth=3
	s_or_b32 exec_lo, exec_lo, s41
	s_trap 2
	ds_load_b64 v[100:101], v0
	s_wait_dscnt 0x0
	v_add_nc_u64_e32 v[12:13], v[12:13], v[32:33]
	s_mov_b32 s41, exec_lo
	s_delay_alu instid0(VALU_DEP_1)
	v_cmpx_lt_u64_e64 v[100:101], v[12:13]
	s_cbranch_execz .LBB2_464
; %bb.456:                              ;   in Loop: Header=BB2_424 Depth=3
	s_mov_b32 s60, 0
	s_mov_b32 s63, 0
                                        ; implicit-def: $sgpr61
                                        ; implicit-def: $sgpr62
	s_branch .LBB2_458
.LBB2_457:                              ;   in Loop: Header=BB2_458 Depth=4
	s_or_b32 exec_lo, exec_lo, s73
	s_delay_alu instid0(SALU_CYCLE_1) | instskip(NEXT) | instid1(SALU_CYCLE_1)
	s_and_b32 s72, exec_lo, s74
	s_or_b32 s60, s72, s60
	s_and_not1_b32 s61, s61, exec_lo
	s_and_b32 s72, s62, exec_lo
	s_delay_alu instid0(SALU_CYCLE_1)
	s_or_b32 s61, s61, s72
	s_and_not1_b32 exec_lo, exec_lo, s60
	s_cbranch_execz .LBB2_462
.LBB2_458:                              ;   Parent Loop BB2_47 Depth=1
                                        ;     Parent Loop BB2_275 Depth=2
                                        ;       Parent Loop BB2_424 Depth=3
                                        ; =>      This Inner Loop Header: Depth=4
	s_add_co_i32 s63, s63, 1
	s_delay_alu instid0(SALU_CYCLE_1) | instskip(SKIP_1) | instid1(SALU_CYCLE_1)
	s_cmp_lg_u32 s63, 0x2710
	s_cselect_b32 s72, -1, 0
	s_and_b32 vcc_lo, exec_lo, s72
	s_cbranch_vccz .LBB2_460
; %bb.459:                              ;   in Loop: Header=BB2_458 Depth=4
	s_mov_b32 s74, -1
	s_or_b32 s62, s62, exec_lo
	s_and_saveexec_b32 s73, s72
	s_cbranch_execz .LBB2_457
	s_branch .LBB2_461
.LBB2_460:                              ;   in Loop: Header=BB2_458 Depth=4
	s_trap 2
	ds_load_b64 v[100:101], v0
	s_and_not1_b32 s72, s72, exec_lo
	s_mov_b32 s63, 0
	s_wait_loadcnt_dscnt 0x0
	flat_load_b32 v2, v[100:101] scope:SCOPE_SYS
	s_wait_loadcnt_dscnt 0x0
	global_inv scope:SCOPE_SYS
	v_cmp_eq_u32_e32 vcc_lo, 0, v2
	s_and_b32 s73, vcc_lo, exec_lo
	s_delay_alu instid0(SALU_CYCLE_1)
	s_or_b32 s72, s72, s73
	s_mov_b32 s74, -1
	s_or_b32 s62, s62, exec_lo
	s_and_saveexec_b32 s73, s72
	s_cbranch_execz .LBB2_457
.LBB2_461:                              ;   in Loop: Header=BB2_458 Depth=4
	s_sleep 1
	s_trap 2
	ds_load_b64 v[100:101], v0
	s_wait_dscnt 0x0
	s_and_not1_b32 s62, s62, exec_lo
	v_cmp_ge_u64_e32 vcc_lo, v[100:101], v[12:13]
	s_or_not1_b32 s74, vcc_lo, exec_lo
	s_branch .LBB2_457
.LBB2_462:                              ;   in Loop: Header=BB2_424 Depth=3
	s_or_b32 exec_lo, exec_lo, s60
	s_and_saveexec_b32 s60, s61
	s_delay_alu instid0(SALU_CYCLE_1)
	s_xor_b32 s60, exec_lo, s60
	s_cbranch_execz .LBB2_464
; %bb.463:                              ;   in Loop: Header=BB2_424 Depth=3
	ds_store_b32 v0, v57
	s_trap 2
.LBB2_464:                              ;   in Loop: Header=BB2_424 Depth=3
	s_or_b32 exec_lo, exec_lo, s41
	;;#ASMSTART
	s_wakeup
	;;#ASMEND
.LBB2_465:                              ;   in Loop: Header=BB2_424 Depth=3
	s_or_b32 exec_lo, exec_lo, s40
.LBB2_466:                              ;   in Loop: Header=BB2_424 Depth=3
	s_and_not1_saveexec_b32 s27, s27
	s_cbranch_execz .LBB2_468
; %bb.467:                              ;   in Loop: Header=BB2_424 Depth=3
	global_wb scope:SCOPE_DEV
	s_wait_storecnt 0x0
	s_wait_loadcnt_dscnt 0x0
	global_inv scope:SCOPE_DEV
	s_barrier_signal -1
	s_barrier_wait -1
.LBB2_468:                              ;   in Loop: Header=BB2_424 Depth=3
	s_or_b32 exec_lo, exec_lo, s27
.LBB2_469:                              ;   in Loop: Header=BB2_424 Depth=3
	s_delay_alu instid0(SALU_CYCLE_1) | instskip(SKIP_1) | instid1(SALU_CYCLE_1)
	s_or_b32 exec_lo, exec_lo, s13
                                        ; implicit-def: $vgpr2
	s_and_saveexec_b32 s13, s47
	s_xor_b32 s13, exec_lo, s13
	s_cbranch_execz .LBB2_481
; %bb.470:                              ;   in Loop: Header=BB2_424 Depth=3
	s_and_saveexec_b32 s27, s3
	s_delay_alu instid0(SALU_CYCLE_1)
	s_xor_b32 s27, exec_lo, s27
	s_cbranch_execz .LBB2_486
; %bb.471:                              ;   in Loop: Header=BB2_424 Depth=3
	s_and_saveexec_b32 s40, s6
	s_cbranch_execz .LBB2_485
; %bb.472:                              ;   in Loop: Header=BB2_424 Depth=3
	s_mov_b32 s60, exec_lo
	s_mov_b32 s41, exec_lo
	v_mbcnt_lo_u32_b32 v2, s60, 0
	;;#ASMSTART
	s_waitcnt lgkmcnt(0) vmcnt(0)
	;;#ASMEND
	s_delay_alu instid0(VALU_DEP_1)
	v_cmpx_eq_u32_e32 0, v2
	s_cbranch_execz .LBB2_474
; %bb.473:                              ;   in Loop: Header=BB2_424 Depth=3
	s_bcnt1_i32_b32 s60, s60
	s_delay_alu instid0(SALU_CYCLE_1)
	v_mov_b32_e32 v2, s60
	s_wait_storecnt 0x0
	s_wait_loadcnt_dscnt 0x0
	ds_add_u64 v0, v[2:3]
	s_trap 2
.LBB2_474:                              ;   in Loop: Header=BB2_424 Depth=3
	s_or_b32 exec_lo, exec_lo, s41
	s_trap 2
	ds_load_b64 v[100:101], v0
	s_wait_dscnt 0x0
	v_add_nc_u64_e32 v[12:13], v[12:13], v[32:33]
	s_mov_b32 s41, exec_lo
	s_delay_alu instid0(VALU_DEP_1)
	v_cmpx_lt_u64_e64 v[100:101], v[12:13]
	s_cbranch_execz .LBB2_484
; %bb.475:                              ;   in Loop: Header=BB2_424 Depth=3
	s_mov_b32 s60, 0
	s_mov_b32 s63, 0
                                        ; implicit-def: $sgpr61
                                        ; implicit-def: $sgpr62
	s_branch .LBB2_477
.LBB2_476:                              ;   in Loop: Header=BB2_477 Depth=4
	s_or_b32 exec_lo, exec_lo, s73
	s_delay_alu instid0(SALU_CYCLE_1) | instskip(NEXT) | instid1(SALU_CYCLE_1)
	s_and_b32 s72, exec_lo, s74
	s_or_b32 s60, s72, s60
	s_and_not1_b32 s61, s61, exec_lo
	s_and_b32 s72, s62, exec_lo
	s_delay_alu instid0(SALU_CYCLE_1)
	s_or_b32 s61, s61, s72
	s_and_not1_b32 exec_lo, exec_lo, s60
	s_cbranch_execz .LBB2_482
.LBB2_477:                              ;   Parent Loop BB2_47 Depth=1
                                        ;     Parent Loop BB2_275 Depth=2
                                        ;       Parent Loop BB2_424 Depth=3
                                        ; =>      This Inner Loop Header: Depth=4
	s_add_co_i32 s63, s63, 1
	s_delay_alu instid0(SALU_CYCLE_1) | instskip(SKIP_1) | instid1(SALU_CYCLE_1)
	s_cmp_lg_u32 s63, 0x2710
	s_cselect_b32 s72, -1, 0
	s_and_b32 vcc_lo, exec_lo, s72
	s_cbranch_vccz .LBB2_479
; %bb.478:                              ;   in Loop: Header=BB2_477 Depth=4
	s_mov_b32 s74, -1
	s_or_b32 s62, s62, exec_lo
	s_and_saveexec_b32 s73, s72
	s_cbranch_execz .LBB2_476
	s_branch .LBB2_480
.LBB2_479:                              ;   in Loop: Header=BB2_477 Depth=4
	s_trap 2
	ds_load_b64 v[100:101], v0
	s_and_not1_b32 s72, s72, exec_lo
	s_mov_b32 s63, 0
	s_wait_storecnt 0x0
	s_wait_loadcnt_dscnt 0x0
	flat_load_b32 v2, v[100:101] scope:SCOPE_SYS
	s_wait_loadcnt_dscnt 0x0
	global_inv scope:SCOPE_SYS
	v_cmp_eq_u32_e32 vcc_lo, 0, v2
	s_and_b32 s73, vcc_lo, exec_lo
	s_delay_alu instid0(SALU_CYCLE_1)
	s_or_b32 s72, s72, s73
	s_mov_b32 s74, -1
	s_or_b32 s62, s62, exec_lo
	s_and_saveexec_b32 s73, s72
	s_cbranch_execz .LBB2_476
.LBB2_480:                              ;   in Loop: Header=BB2_477 Depth=4
	s_sleep 1
	s_trap 2
	ds_load_b64 v[100:101], v0
	s_wait_dscnt 0x0
	s_and_not1_b32 s62, s62, exec_lo
	v_cmp_ge_u64_e32 vcc_lo, v[100:101], v[12:13]
	s_or_not1_b32 s74, vcc_lo, exec_lo
	s_branch .LBB2_476
.LBB2_481:                              ;   in Loop: Header=BB2_424 Depth=3
	s_and_not1_saveexec_b32 s27, s13
	s_cbranch_execnz .LBB2_489
	s_branch .LBB2_492
.LBB2_482:                              ;   in Loop: Header=BB2_424 Depth=3
	s_or_b32 exec_lo, exec_lo, s60
	s_and_saveexec_b32 s60, s61
	s_delay_alu instid0(SALU_CYCLE_1)
	s_xor_b32 s60, exec_lo, s60
	s_cbranch_execz .LBB2_484
; %bb.483:                              ;   in Loop: Header=BB2_424 Depth=3
	ds_store_b32 v0, v57
	s_trap 2
.LBB2_484:                              ;   in Loop: Header=BB2_424 Depth=3
	s_or_b32 exec_lo, exec_lo, s41
	;;#ASMSTART
	s_wakeup
	;;#ASMEND
.LBB2_485:                              ;   in Loop: Header=BB2_424 Depth=3
	s_or_b32 exec_lo, exec_lo, s40
.LBB2_486:                              ;   in Loop: Header=BB2_424 Depth=3
	s_and_not1_saveexec_b32 s27, s27
	s_cbranch_execz .LBB2_488
; %bb.487:                              ;   in Loop: Header=BB2_424 Depth=3
	;;#ASMSTART
	s_waitcnt lgkmcnt(0) vmcnt(0)
	;;#ASMEND
	s_barrier_signal -1
	s_barrier_wait -1
.LBB2_488:                              ;   in Loop: Header=BB2_424 Depth=3
	s_or_b32 exec_lo, exec_lo, s27
	v_and_b32_e32 v2, 16, v30
	s_and_not1_saveexec_b32 s27, s13
	s_cbranch_execz .LBB2_492
.LBB2_489:                              ;   in Loop: Header=BB2_424 Depth=3
	s_trap 2
	ds_load_b32 v2, v0
	v_cmp_lt_i32_e32 vcc_lo, 0, v8
	s_wait_dscnt 0x0
	v_readfirstlane_b32 s13, v2
	v_and_b32_e32 v2, 16, v30
	s_cmp_eq_u32 s13, 0
	s_delay_alu instid0(VALU_DEP_1) | instskip(SKIP_3) | instid1(SALU_CYCLE_1)
	v_cmp_ne_u32_e64 s13, 0, v2
	s_cselect_b32 s40, -1, 0
	v_and_b32_e32 v2, 16, v30
	s_and_b32 s40, vcc_lo, s40
	s_and_b32 s40, s13, s40
	s_delay_alu instid0(SALU_CYCLE_1)
	s_and_saveexec_b32 s13, s40
	s_cbranch_execz .LBB2_491
; %bb.490:                              ;   in Loop: Header=BB2_424 Depth=3
	v_mov_b32_e32 v2, 1
	global_wb scope:SCOPE_SYS
	s_wait_loadcnt 0x0
	s_wait_storecnt 0x0
	global_inv scope:SCOPE_SYS
.LBB2_491:                              ;   in Loop: Header=BB2_424 Depth=3
	s_or_b32 exec_lo, exec_lo, s13
.LBB2_492:                              ;   in Loop: Header=BB2_424 Depth=3
	s_delay_alu instid0(SALU_CYCLE_1) | instskip(NEXT) | instid1(VALU_DEP_1)
	s_or_b32 exec_lo, exec_lo, s27
	v_cmp_ne_u32_e32 vcc_lo, 0, v2
	s_xor_b32 s13, s4, -1
	s_delay_alu instid0(SALU_CYCLE_1) | instskip(NEXT) | instid1(SALU_CYCLE_1)
	s_and_b32 s27, vcc_lo, s13
	s_and_saveexec_b32 s13, s27
	s_cbranch_execz .LBB2_494
; %bb.493:                              ;   in Loop: Header=BB2_424 Depth=3
	global_wb scope:SCOPE_SYS
	s_wait_storecnt 0x0
	s_wait_loadcnt_dscnt 0x0
	flat_store_b32 v[26:27], v57 scope:SCOPE_SYS
.LBB2_494:                              ;   in Loop: Header=BB2_424 Depth=3
	s_wait_xcnt 0x0
	s_or_b32 exec_lo, exec_lo, s13
	v_and_b32_e32 v2, 48, v30
	s_mov_b32 s13, exec_lo
	s_delay_alu instid0(VALU_DEP_1)
	v_cmpx_ne_u32_e32 0, v2
	s_cbranch_execz .LBB2_423
; %bb.495:                              ;   in Loop: Header=BB2_424 Depth=3
	v_add_nc_u64_e32 v[86:87], 2, v[86:87]
	global_wb scope:SCOPE_SYS
	s_wait_storecnt 0x0
	s_wait_loadcnt_dscnt 0x0
	flat_store_b64 v[20:21], v[86:87] scope:SCOPE_SYS
	s_branch .LBB2_423
.LBB2_496:                              ;   in Loop: Header=BB2_47 Depth=1
	v_mul_u64_e32 v[8:9], s[16:17], v[84:85]
	v_mov_b32_e32 v102, 0
	s_delay_alu instid0(VALU_DEP_2) | instskip(NEXT) | instid1(VALU_DEP_1)
	v_sub_nc_u64_e32 v[10:11], v[96:97], v[8:9]
	v_min_i64 v[10:11], v[84:85], v[10:11]
	s_delay_alu instid0(VALU_DEP_1) | instskip(SKIP_1) | instid1(VALU_DEP_2)
	v_max_i32_e32 v63, 0, v10
	v_cmp_lt_i32_e32 vcc_lo, 0, v10
	v_add_nc_u32_e32 v2, 31, v63
	s_and_b32 s13, s57, vcc_lo
	s_delay_alu instid0(VALU_DEP_1) | instskip(NEXT) | instid1(VALU_DEP_1)
	v_lshrrev_b32_e32 v2, 1, v2
	v_and_b32_e32 v11, 0x3ffffff0, v2
	s_delay_alu instid0(VALU_DEP_1)
	v_dual_mov_b32 v2, 0 :: v_dual_max_i32 v100, s45, v11
	s_and_saveexec_b32 s18, s13
	s_cbranch_execz .LBB2_679
; %bb.497:                              ;   in Loop: Header=BB2_47 Depth=1
	v_add_nc_u64_e32 v[8:9], v[8:9], v[98:99]
	v_mov_b32_e32 v102, 0
	s_mov_b32 s61, 1
	s_mov_b32 s60, -1
	s_mov_b32 s27, 0
	s_delay_alu instid0(VALU_DEP_2)
	v_lshlrev_b64_e32 v[112:113], 2, v[8:9]
	s_branch .LBB2_499
.LBB2_498:                              ;   in Loop: Header=BB2_499 Depth=2
	s_wait_xcnt 0x0
	s_or_b32 exec_lo, exec_lo, s13
	v_dual_add_nc_u32 v102, v100, v102 :: v_dual_mov_b32 v2, s61
	s_xor_b32 s13, s60, -1
	s_mov_b32 s60, 0
	s_mov_b32 s61, 2
	s_delay_alu instid0(VALU_DEP_1) | instskip(SKIP_1) | instid1(SALU_CYCLE_1)
	v_cmp_ge_i32_e32 vcc_lo, v102, v63
	s_or_b32 s13, s13, vcc_lo
	s_and_b32 s13, exec_lo, s13
	s_delay_alu instid0(SALU_CYCLE_1) | instskip(NEXT) | instid1(SALU_CYCLE_1)
	s_or_b32 s27, s13, s27
	s_and_not1_b32 exec_lo, exec_lo, s27
	s_cbranch_execz .LBB2_678
.LBB2_499:                              ;   Parent Loop BB2_47 Depth=1
                                        ; =>  This Loop Header: Depth=2
                                        ;       Child Loop BB2_507 Depth 3
                                        ;       Child Loop BB2_535 Depth 3
                                        ;       Child Loop BB2_554 Depth 3
                                        ;       Child Loop BB2_577 Depth 3
                                        ;         Child Loop BB2_578 Depth 4
                                        ;       Child Loop BB2_584 Depth 3
                                        ;         Child Loop BB2_585 Depth 4
                                        ;       Child Loop BB2_594 Depth 3
                                        ;       Child Loop BB2_599 Depth 3
                                        ;         Child Loop BB2_600 Depth 4
                                        ;       Child Loop BB2_612 Depth 3
                                        ;       Child Loop BB2_617 Depth 3
	;; [unrolled: 1-line block ×6, first 2 shown]
	s_and_saveexec_b32 s13, s0
	s_cbranch_execz .LBB2_501
; %bb.500:                              ;   in Loop: Header=BB2_499 Depth=2
	s_trap 2
	ds_load_b64 v[114:115], v0
	ds_load_2addr_b64 v[8:11], v0 offset1:1
	s_wait_dscnt 0x1
	v_cmp_ne_u64_e32 vcc_lo, 0, v[114:115]
	v_ashrrev_i32_e32 v103, 31, v102
	v_add_nc_u64_e32 v[118:119], v[114:115], v[112:113]
	s_wait_dscnt 0x0
	v_add_nc_u64_e32 v[8:9], v[8:9], v[112:113]
	v_add_nc_u64_e32 v[10:11], v[10:11], v[112:113]
	v_lshlrev_b64_e32 v[116:117], 2, v[102:103]
	s_delay_alu instid0(VALU_DEP_1) | instskip(NEXT) | instid1(VALU_DEP_4)
	v_add_nc_u64_e32 v[118:119], v[118:119], v[116:117]
	v_add_nc_u64_e32 v[8:9], v[8:9], v[116:117]
	s_delay_alu instid0(VALU_DEP_4) | instskip(NEXT) | instid1(VALU_DEP_3)
	v_add_nc_u64_e32 v[10:11], v[10:11], v[116:117]
	v_dual_cndmask_b32 v115, 0, v119 :: v_dual_cndmask_b32 v114, 0, v118
	ds_store_b64 v0, v[8:9]
	ds_store_b64 v0, v[10:11]
	;; [unrolled: 1-line block ×3, first 2 shown]
.LBB2_501:                              ;   in Loop: Header=BB2_499 Depth=2
	s_or_b32 exec_lo, exec_lo, s13
	v_sub_nc_u32_e32 v2, v63, v102
	v_and_b32_e32 v8, 12, v30
	s_mov_b32 s14, exec_lo
	s_delay_alu instid0(VALU_DEP_2) | instskip(NEXT) | instid1(VALU_DEP_2)
	v_min_i32_e32 v100, v100, v2
	v_cmpx_ne_u32_e32 0, v8
	s_cbranch_execz .LBB2_527
; %bb.502:                              ;   in Loop: Header=BB2_499 Depth=2
	v_and_b32_e32 v2, 8, v30
	v_add_nc_u64_e32 v[8:9], 2, v[86:87]
	s_mov_b32 s15, exec_lo
	s_wait_loadcnt_dscnt 0x1
	s_delay_alu instid0(VALU_DEP_2) | instskip(NEXT) | instid1(VALU_DEP_1)
	v_add_nc_u64_e32 v[10:11], v[28:29], v[2:3]
	v_cmpx_lt_u64_e64 v[10:11], v[8:9]
	s_cbranch_execz .LBB2_514
; %bb.503:                              ;   in Loop: Header=BB2_499 Depth=2
	v_and_b32_e32 v10, 64, v30
	s_mov_b32 s40, 0
	s_mov_b32 s72, 0
                                        ; implicit-def: $sgpr41
                                        ; implicit-def: $sgpr62
                                        ; implicit-def: $sgpr63
	s_delay_alu instid0(VALU_DEP_1)
	v_cmp_eq_u32_e32 vcc_lo, 0, v10
	s_branch .LBB2_507
.LBB2_504:                              ;   in Loop: Header=BB2_507 Depth=3
	s_wait_loadcnt_dscnt 0x0
	v_add_nc_u64_e32 v[114:115], v[28:29], v[2:3]
	s_or_b32 s75, s75, exec_lo
	s_delay_alu instid0(VALU_DEP_1)
	v_cmp_ge_u64_e64 s13, v[114:115], v[8:9]
	s_or_not1_b32 s74, s13, exec_lo
.LBB2_505:                              ;   in Loop: Header=BB2_507 Depth=3
	s_or_b32 exec_lo, exec_lo, s77
	s_delay_alu instid0(SALU_CYCLE_1)
	s_and_not1_b32 s13, s63, exec_lo
	s_and_b32 s63, s75, exec_lo
	s_and_not1_b32 s62, s62, exec_lo
	s_and_b32 s74, s74, exec_lo
	s_or_b32 s63, s13, s63
	s_or_b32 s62, s62, s74
.LBB2_506:                              ;   in Loop: Header=BB2_507 Depth=3
	s_or_b32 exec_lo, exec_lo, s73
	s_delay_alu instid0(SALU_CYCLE_1) | instskip(NEXT) | instid1(SALU_CYCLE_1)
	s_and_b32 s13, exec_lo, s62
	s_or_b32 s40, s13, s40
	s_and_not1_b32 s13, s41, exec_lo
	s_and_b32 s41, s63, exec_lo
	s_delay_alu instid0(SALU_CYCLE_1)
	s_or_b32 s41, s13, s41
	s_and_not1_b32 exec_lo, exec_lo, s40
	s_cbranch_execz .LBB2_511
.LBB2_507:                              ;   Parent Loop BB2_47 Depth=1
                                        ;     Parent Loop BB2_499 Depth=2
                                        ; =>    This Inner Loop Header: Depth=3
	s_sleep 1
	s_wait_loadcnt_dscnt 0x0
	flat_load_b64 v[28:29], v[20:21] scope:SCOPE_SYS
	s_or_b32 s63, s63, exec_lo
	s_or_b32 s62, s62, exec_lo
                                        ; implicit-def: $vgpr10
	s_wait_xcnt 0x0
	s_and_saveexec_b32 s73, vcc_lo
	s_cbranch_execz .LBB2_506
; %bb.508:                              ;   in Loop: Header=BB2_507 Depth=3
	s_cmp_lt_i32 s72, 0x270f
	s_mov_b32 s74, -1
	s_cselect_b32 s76, -1, 0
	s_cmp_gt_i32 s72, 0x270e
	s_cbranch_scc0 .LBB2_510
; %bb.509:                              ;   in Loop: Header=BB2_507 Depth=3
	s_trap 2
	ds_load_b64 v[10:11], v0
	s_and_not1_b32 s72, s76, exec_lo
	s_mov_b32 s75, 0
	s_wait_storecnt 0x0
	s_wait_loadcnt_dscnt 0x0
	flat_load_b32 v10, v[10:11] scope:SCOPE_SYS
	s_wait_loadcnt_dscnt 0x0
	global_inv scope:SCOPE_SYS
	v_cmp_eq_u32_e64 s13, 0, v10
	s_and_b32 s13, s13, exec_lo
	s_delay_alu instid0(SALU_CYCLE_1)
	s_or_b32 s76, s72, s13
	s_mov_b32 s72, 0
	s_and_saveexec_b32 s77, s76
	s_cbranch_execz .LBB2_505
	s_branch .LBB2_504
.LBB2_510:                              ;   in Loop: Header=BB2_507 Depth=3
	s_add_co_i32 s72, s72, 1
	s_mov_b32 s75, -1
                                        ; implicit-def: $vgpr10
	s_and_saveexec_b32 s77, s76
	s_cbranch_execz .LBB2_505
	s_branch .LBB2_504
.LBB2_511:                              ;   in Loop: Header=BB2_499 Depth=2
	s_or_b32 exec_lo, exec_lo, s40
	s_xor_b32 s13, s41, -1
	s_delay_alu instid0(SALU_CYCLE_1) | instskip(NEXT) | instid1(SALU_CYCLE_1)
	s_and_saveexec_b32 s40, s13
	s_xor_b32 s13, exec_lo, s40
	s_cbranch_execz .LBB2_513
; %bb.512:                              ;   in Loop: Header=BB2_499 Depth=2
	v_or_b32_e32 v30, 64, v30
	s_wait_storecnt 0x0
	s_wait_loadcnt_dscnt 0x0
	ds_store_b32 v0, v10
	s_trap 2
.LBB2_513:                              ;   in Loop: Header=BB2_499 Depth=2
	s_or_b32 exec_lo, exec_lo, s13
.LBB2_514:                              ;   in Loop: Header=BB2_499 Depth=2
	s_delay_alu instid0(SALU_CYCLE_1) | instskip(SKIP_2) | instid1(VALU_DEP_1)
	s_or_b32 exec_lo, exec_lo, s15
	v_and_b32_e32 v10, 0x108, v30
	;;#ASMSTART
	s_wakeup
	;;#ASMEND
	v_cmp_ne_u32_e32 vcc_lo, 0x108, v10
                                        ; implicit-def: $vgpr10_vgpr11
	s_and_saveexec_b32 s13, vcc_lo
	s_delay_alu instid0(SALU_CYCLE_1)
	s_xor_b32 s13, exec_lo, s13
; %bb.515:                              ;   in Loop: Header=BB2_499 Depth=2
	v_dual_mov_b32 v11, v3 :: v_dual_bitop2_b32 v10, 7, v86 bitop3:0x40
                                        ; implicit-def: $vgpr86_vgpr87
; %bb.516:                              ;   in Loop: Header=BB2_499 Depth=2
	s_and_not1_saveexec_b32 s13, s13
	s_cbranch_execz .LBB2_518
; %bb.517:                              ;   in Loop: Header=BB2_499 Depth=2
	v_dual_ashrrev_i32 v101, 31, v100 :: v_dual_bitop2_b32 v10, 7, v86 bitop3:0x40
	v_mov_b32_e32 v11, v3
	s_delay_alu instid0(VALU_DEP_2) | instskip(NEXT) | instid1(VALU_DEP_3)
	v_mad_nc_u64_u32 v[86:87], v10, 24, v[6:7]
	v_lshlrev_b64_e32 v[114:115], 2, v[100:101]
	flat_store_b64 v[86:87], v[114:115] offset:8
.LBB2_518:                              ;   in Loop: Header=BB2_499 Depth=2
	s_wait_xcnt 0x0
	s_or_b32 exec_lo, exec_lo, s13
	v_and_b32_e32 v86, 0x100, v30
	s_mov_b32 s13, -1
	s_delay_alu instid0(VALU_DEP_1)
	v_cmp_ne_u32_e32 vcc_lo, 0, v86
                                        ; implicit-def: $vgpr86_vgpr87
	s_and_saveexec_b32 s15, vcc_lo
	s_cbranch_execz .LBB2_522
; %bb.519:                              ;   in Loop: Header=BB2_499 Depth=2
	v_mad_nc_u64_u32 v[114:115], v10, 24, v[6:7]
	s_delay_alu instid0(VALU_DEP_1)
	v_mad_u32 v115, v11, 24, v115
	flat_load_b32 v86, v[114:115]
	s_wait_loadcnt_dscnt 0x0
	v_cmp_eq_u32_e64 s13, 1, v86
	v_cmp_ne_u32_e32 vcc_lo, 1, v86
                                        ; implicit-def: $vgpr86_vgpr87
	s_wait_xcnt 0x0
	s_and_saveexec_b32 s40, s13
	s_cbranch_execz .LBB2_521
; %bb.520:                              ;   in Loop: Header=BB2_499 Depth=2
	flat_load_b32 v86, v[114:115] offset:4 scope:SCOPE_SYS
	s_wait_loadcnt_dscnt 0x0
	v_ashrrev_i32_e32 v87, 31, v86
	s_delay_alu instid0(VALU_DEP_1)
	v_lshrrev_b64 v[86:87], 2, v[86:87]
.LBB2_521:                              ;   in Loop: Header=BB2_499 Depth=2
	s_wait_xcnt 0x0
	s_or_b32 exec_lo, exec_lo, s40
	s_delay_alu instid0(SALU_CYCLE_1)
	s_or_not1_b32 s13, vcc_lo, exec_lo
.LBB2_522:                              ;   in Loop: Header=BB2_499 Depth=2
	s_or_b32 exec_lo, exec_lo, s15
	s_and_saveexec_b32 s15, s13
; %bb.523:                              ;   in Loop: Header=BB2_499 Depth=2
	v_mul_u64_e32 v[86:87], v[10:11], v[22:23]
; %bb.524:                              ;   in Loop: Header=BB2_499 Depth=2
	s_or_b32 exec_lo, exec_lo, s15
	v_cmp_eq_u32_e32 vcc_lo, 0, v2
	v_and_b32_e32 v101, 0x2000, v30
	s_delay_alu instid0(VALU_DEP_3) | instskip(SKIP_2) | instid1(VALU_DEP_1)
	v_lshl_add_u64 v[10:11], v[86:87], 2, v[24:25]
	s_mov_b32 s13, exec_lo
	v_cndmask_b32_e32 v2, 0xd0, v58, vcc_lo
	v_add_nc_u32_e32 v2, v0, v2
	ds_store_b64 v2, v[10:11] offset:584
	v_cmpx_ne_u32_e32 0, v101
	s_cbranch_execz .LBB2_526
; %bb.525:                              ;   in Loop: Header=BB2_499 Depth=2
	ds_load_b64 v[10:11], v0 offset:872
	s_wait_dscnt 0x0
	v_add_nc_u64_e32 v[10:11], 1, v[10:11]
	ds_store_b64 v0, v[10:11] offset:872
.LBB2_526:                              ;   in Loop: Header=BB2_499 Depth=2
	s_or_b32 exec_lo, exec_lo, s13
	v_mov_b64_e32 v[86:87], v[8:9]
.LBB2_527:                              ;   in Loop: Header=BB2_499 Depth=2
	s_or_b32 exec_lo, exec_lo, s14
	s_and_saveexec_b32 s13, s2
	s_cbranch_execz .LBB2_546
; %bb.528:                              ;   in Loop: Header=BB2_499 Depth=2
	s_and_saveexec_b32 s14, s3
	s_delay_alu instid0(SALU_CYCLE_1)
	s_xor_b32 s14, exec_lo, s14
	s_cbranch_execz .LBB2_543
; %bb.529:                              ;   in Loop: Header=BB2_499 Depth=2
	s_and_saveexec_b32 s15, s6
	s_cbranch_execz .LBB2_542
; %bb.530:                              ;   in Loop: Header=BB2_499 Depth=2
	s_mov_b32 s41, exec_lo
	s_mov_b32 s40, exec_lo
	v_mbcnt_lo_u32_b32 v2, s41, 0
	global_wb scope:SCOPE_DEV
	s_wait_storecnt 0x0
	s_wait_loadcnt_dscnt 0x0
	global_inv scope:SCOPE_DEV
	v_cmpx_eq_u32_e32 0, v2
	s_cbranch_execz .LBB2_532
; %bb.531:                              ;   in Loop: Header=BB2_499 Depth=2
	s_bcnt1_i32_b32 s41, s41
	s_delay_alu instid0(SALU_CYCLE_1)
	v_mov_b32_e32 v2, s41
	s_wait_loadcnt 0x0
	ds_add_u64 v0, v[2:3]
	s_trap 2
.LBB2_532:                              ;   in Loop: Header=BB2_499 Depth=2
	s_or_b32 exec_lo, exec_lo, s40
	s_trap 2
	ds_load_b64 v[8:9], v0
	s_wait_dscnt 0x0
	v_add_nc_u64_e32 v[12:13], v[12:13], v[32:33]
	s_mov_b32 s40, exec_lo
	s_delay_alu instid0(VALU_DEP_1)
	v_cmpx_lt_u64_e64 v[8:9], v[12:13]
	s_cbranch_execz .LBB2_541
; %bb.533:                              ;   in Loop: Header=BB2_499 Depth=2
	s_mov_b32 s41, 0
	s_mov_b32 s72, 0
                                        ; implicit-def: $sgpr62
                                        ; implicit-def: $sgpr63
	s_branch .LBB2_535
.LBB2_534:                              ;   in Loop: Header=BB2_535 Depth=3
	s_or_b32 exec_lo, exec_lo, s74
	s_delay_alu instid0(SALU_CYCLE_1) | instskip(NEXT) | instid1(SALU_CYCLE_1)
	s_and_b32 s73, exec_lo, s75
	s_or_b32 s41, s73, s41
	s_and_not1_b32 s62, s62, exec_lo
	s_and_b32 s73, s63, exec_lo
	s_delay_alu instid0(SALU_CYCLE_1)
	s_or_b32 s62, s62, s73
	s_and_not1_b32 exec_lo, exec_lo, s41
	s_cbranch_execz .LBB2_539
.LBB2_535:                              ;   Parent Loop BB2_47 Depth=1
                                        ;     Parent Loop BB2_499 Depth=2
                                        ; =>    This Inner Loop Header: Depth=3
	s_add_co_i32 s72, s72, 1
	s_delay_alu instid0(SALU_CYCLE_1) | instskip(SKIP_1) | instid1(SALU_CYCLE_1)
	s_cmp_lg_u32 s72, 0x2710
	s_cselect_b32 s73, -1, 0
	s_and_b32 vcc_lo, exec_lo, s73
	s_cbranch_vccz .LBB2_537
; %bb.536:                              ;   in Loop: Header=BB2_535 Depth=3
	s_mov_b32 s75, -1
	s_or_b32 s63, s63, exec_lo
	s_and_saveexec_b32 s74, s73
	s_cbranch_execz .LBB2_534
	s_branch .LBB2_538
.LBB2_537:                              ;   in Loop: Header=BB2_535 Depth=3
	s_trap 2
	ds_load_b64 v[8:9], v0
	s_and_not1_b32 s73, s73, exec_lo
	s_mov_b32 s72, 0
	s_wait_loadcnt_dscnt 0x0
	flat_load_b32 v2, v[8:9] scope:SCOPE_SYS
	s_wait_loadcnt_dscnt 0x0
	global_inv scope:SCOPE_SYS
	v_cmp_eq_u32_e32 vcc_lo, 0, v2
	s_and_b32 s74, vcc_lo, exec_lo
	s_delay_alu instid0(SALU_CYCLE_1)
	s_or_b32 s73, s73, s74
	s_mov_b32 s75, -1
	s_or_b32 s63, s63, exec_lo
	s_and_saveexec_b32 s74, s73
	s_cbranch_execz .LBB2_534
.LBB2_538:                              ;   in Loop: Header=BB2_535 Depth=3
	s_sleep 1
	s_trap 2
	ds_load_b64 v[8:9], v0
	s_wait_dscnt 0x0
	s_and_not1_b32 s63, s63, exec_lo
	v_cmp_ge_u64_e32 vcc_lo, v[8:9], v[12:13]
	s_or_not1_b32 s75, vcc_lo, exec_lo
	s_branch .LBB2_534
.LBB2_539:                              ;   in Loop: Header=BB2_499 Depth=2
	s_or_b32 exec_lo, exec_lo, s41
	s_and_saveexec_b32 s41, s62
	s_delay_alu instid0(SALU_CYCLE_1)
	s_xor_b32 s41, exec_lo, s41
	s_cbranch_execz .LBB2_541
; %bb.540:                              ;   in Loop: Header=BB2_499 Depth=2
	ds_store_b32 v0, v57
	s_trap 2
.LBB2_541:                              ;   in Loop: Header=BB2_499 Depth=2
	s_or_b32 exec_lo, exec_lo, s40
	;;#ASMSTART
	s_wakeup
	;;#ASMEND
.LBB2_542:                              ;   in Loop: Header=BB2_499 Depth=2
	s_or_b32 exec_lo, exec_lo, s15
.LBB2_543:                              ;   in Loop: Header=BB2_499 Depth=2
	s_and_not1_saveexec_b32 s14, s14
	s_cbranch_execz .LBB2_545
; %bb.544:                              ;   in Loop: Header=BB2_499 Depth=2
	global_wb scope:SCOPE_DEV
	s_wait_storecnt 0x0
	s_wait_loadcnt_dscnt 0x0
	global_inv scope:SCOPE_DEV
	s_barrier_signal -1
	s_barrier_wait -1
.LBB2_545:                              ;   in Loop: Header=BB2_499 Depth=2
	s_or_b32 exec_lo, exec_lo, s14
.LBB2_546:                              ;   in Loop: Header=BB2_499 Depth=2
	s_delay_alu instid0(SALU_CYCLE_1) | instskip(SKIP_4) | instid1(VALU_DEP_1)
	s_or_b32 exec_lo, exec_lo, s13
	s_trap 2
	ds_load_b32 v8, v0
	v_and_b32_e32 v2, 0x4000, v30
	s_xor_b32 s13, s1, -1
	v_cmp_ne_u32_e32 vcc_lo, 0, v2
	s_and_b32 s14, s13, vcc_lo
	s_delay_alu instid0(SALU_CYCLE_1)
	s_and_saveexec_b32 s13, s14
	s_cbranch_execz .LBB2_565
; %bb.547:                              ;   in Loop: Header=BB2_499 Depth=2
	s_and_saveexec_b32 s14, s3
	s_delay_alu instid0(SALU_CYCLE_1)
	s_xor_b32 s14, exec_lo, s14
	s_cbranch_execz .LBB2_562
; %bb.548:                              ;   in Loop: Header=BB2_499 Depth=2
	s_and_saveexec_b32 s15, s6
	s_cbranch_execz .LBB2_561
; %bb.549:                              ;   in Loop: Header=BB2_499 Depth=2
	s_mov_b32 s41, exec_lo
	s_mov_b32 s40, exec_lo
	v_mbcnt_lo_u32_b32 v2, s41, 0
	global_wb scope:SCOPE_DEV
	s_wait_storecnt 0x0
	s_wait_loadcnt_dscnt 0x0
	global_inv scope:SCOPE_DEV
	v_cmpx_eq_u32_e32 0, v2
	s_cbranch_execz .LBB2_551
; %bb.550:                              ;   in Loop: Header=BB2_499 Depth=2
	s_bcnt1_i32_b32 s41, s41
	s_delay_alu instid0(SALU_CYCLE_1)
	v_mov_b32_e32 v2, s41
	s_wait_loadcnt 0x0
	ds_add_u64 v0, v[2:3]
	s_trap 2
.LBB2_551:                              ;   in Loop: Header=BB2_499 Depth=2
	s_or_b32 exec_lo, exec_lo, s40
	s_trap 2
	ds_load_b64 v[10:11], v0
	s_wait_dscnt 0x0
	v_add_nc_u64_e32 v[12:13], v[12:13], v[32:33]
	s_mov_b32 s40, exec_lo
	s_delay_alu instid0(VALU_DEP_1)
	v_cmpx_lt_u64_e64 v[10:11], v[12:13]
	s_cbranch_execz .LBB2_560
; %bb.552:                              ;   in Loop: Header=BB2_499 Depth=2
	s_mov_b32 s41, 0
	s_mov_b32 s72, 0
                                        ; implicit-def: $sgpr62
                                        ; implicit-def: $sgpr63
	s_branch .LBB2_554
.LBB2_553:                              ;   in Loop: Header=BB2_554 Depth=3
	s_or_b32 exec_lo, exec_lo, s74
	s_delay_alu instid0(SALU_CYCLE_1) | instskip(NEXT) | instid1(SALU_CYCLE_1)
	s_and_b32 s73, exec_lo, s75
	s_or_b32 s41, s73, s41
	s_and_not1_b32 s62, s62, exec_lo
	s_and_b32 s73, s63, exec_lo
	s_delay_alu instid0(SALU_CYCLE_1)
	s_or_b32 s62, s62, s73
	s_and_not1_b32 exec_lo, exec_lo, s41
	s_cbranch_execz .LBB2_558
.LBB2_554:                              ;   Parent Loop BB2_47 Depth=1
                                        ;     Parent Loop BB2_499 Depth=2
                                        ; =>    This Inner Loop Header: Depth=3
	s_add_co_i32 s72, s72, 1
	s_delay_alu instid0(SALU_CYCLE_1) | instskip(SKIP_1) | instid1(SALU_CYCLE_1)
	s_cmp_lg_u32 s72, 0x2710
	s_cselect_b32 s73, -1, 0
	s_and_b32 vcc_lo, exec_lo, s73
	s_cbranch_vccz .LBB2_556
; %bb.555:                              ;   in Loop: Header=BB2_554 Depth=3
	s_mov_b32 s75, -1
	s_or_b32 s63, s63, exec_lo
	s_and_saveexec_b32 s74, s73
	s_cbranch_execz .LBB2_553
	s_branch .LBB2_557
.LBB2_556:                              ;   in Loop: Header=BB2_554 Depth=3
	s_trap 2
	ds_load_b64 v[10:11], v0
	s_and_not1_b32 s73, s73, exec_lo
	s_mov_b32 s72, 0
	s_wait_loadcnt_dscnt 0x0
	flat_load_b32 v2, v[10:11] scope:SCOPE_SYS
	s_wait_loadcnt_dscnt 0x0
	global_inv scope:SCOPE_SYS
	v_cmp_eq_u32_e32 vcc_lo, 0, v2
	s_and_b32 s74, vcc_lo, exec_lo
	s_delay_alu instid0(SALU_CYCLE_1)
	s_or_b32 s73, s73, s74
	s_mov_b32 s75, -1
	s_or_b32 s63, s63, exec_lo
	s_and_saveexec_b32 s74, s73
	s_cbranch_execz .LBB2_553
.LBB2_557:                              ;   in Loop: Header=BB2_554 Depth=3
	s_sleep 1
	s_trap 2
	ds_load_b64 v[10:11], v0
	s_wait_dscnt 0x0
	s_and_not1_b32 s63, s63, exec_lo
	v_cmp_ge_u64_e32 vcc_lo, v[10:11], v[12:13]
	s_or_not1_b32 s75, vcc_lo, exec_lo
	s_branch .LBB2_553
.LBB2_558:                              ;   in Loop: Header=BB2_499 Depth=2
	s_or_b32 exec_lo, exec_lo, s41
	s_and_saveexec_b32 s41, s62
	s_delay_alu instid0(SALU_CYCLE_1)
	s_xor_b32 s41, exec_lo, s41
	s_cbranch_execz .LBB2_560
; %bb.559:                              ;   in Loop: Header=BB2_499 Depth=2
	ds_store_b32 v0, v57
	s_trap 2
.LBB2_560:                              ;   in Loop: Header=BB2_499 Depth=2
	s_or_b32 exec_lo, exec_lo, s40
	;;#ASMSTART
	s_wakeup
	;;#ASMEND
.LBB2_561:                              ;   in Loop: Header=BB2_499 Depth=2
	s_or_b32 exec_lo, exec_lo, s15
.LBB2_562:                              ;   in Loop: Header=BB2_499 Depth=2
	s_and_not1_saveexec_b32 s14, s14
	s_cbranch_execz .LBB2_564
; %bb.563:                              ;   in Loop: Header=BB2_499 Depth=2
	global_wb scope:SCOPE_DEV
	s_wait_storecnt 0x0
	s_wait_loadcnt_dscnt 0x0
	global_inv scope:SCOPE_DEV
	s_barrier_signal -1
	s_barrier_wait -1
.LBB2_564:                              ;   in Loop: Header=BB2_499 Depth=2
	s_or_b32 exec_lo, exec_lo, s14
.LBB2_565:                              ;   in Loop: Header=BB2_499 Depth=2
	s_delay_alu instid0(SALU_CYCLE_1)
	s_or_b32 exec_lo, exec_lo, s13
	s_trap 2
	ds_load_b64 v[114:115], v0
	s_wait_dscnt 0x0
	v_cmp_eq_u64_e32 vcc_lo, 0, v[114:115]
	s_cbranch_vccnz .LBB2_574
; %bb.566:                              ;   in Loop: Header=BB2_499 Depth=2
	s_trap 2
	ds_load_b64 v[116:117], v0
	s_wait_dscnt 0x0
	v_cmp_eq_u64_e32 vcc_lo, 0, v[116:117]
	s_cbranch_vccnz .LBB2_574
; %bb.567:                              ;   in Loop: Header=BB2_499 Depth=2
	s_trap 2
	ds_load_b64 v[118:119], v0
	v_cmp_eq_u32_e32 vcc_lo, 0, v8
	s_mov_b32 s13, -1
	v_cndmask_b32_e32 v2, 0, v100, vcc_lo
	s_delay_alu instid0(VALU_DEP_1)
	v_lshlrev_b32_e32 v101, 2, v2
	s_wait_dscnt 0x0
	v_cmp_ne_u64_e32 vcc_lo, 0, v[118:119]
	s_cbranch_vccz .LBB2_603
; %bb.568:                              ;   in Loop: Header=BB2_499 Depth=2
	s_and_saveexec_b32 s14, s12
	s_cbranch_execz .LBB2_570
; %bb.569:                              ;   in Loop: Header=BB2_499 Depth=2
	ds_load_b32 v8, v0 offset:720
	s_wait_dscnt 0x0
	v_and_b32_e32 v8, 15, v8
	s_delay_alu instid0(VALU_DEP_1)
	v_cmp_eq_u32_e32 vcc_lo, 0, v8
	s_or_not1_b32 s13, vcc_lo, exec_lo
.LBB2_570:                              ;   in Loop: Header=BB2_499 Depth=2
	s_or_b32 exec_lo, exec_lo, s14
	s_and_saveexec_b32 s14, s12
	s_cbranch_execz .LBB2_572
; %bb.571:                              ;   in Loop: Header=BB2_499 Depth=2
	ds_load_b32 v8, v0 offset:784
	s_wait_dscnt 0x0
	v_and_b32_e32 v8, 15, v8
	s_delay_alu instid0(VALU_DEP_1) | instskip(SKIP_3) | instid1(SALU_CYCLE_1)
	v_cmp_eq_u32_e32 vcc_lo, 0, v8
	s_and_b32 s15, s13, vcc_lo
	s_and_not1_b32 s13, s13, exec_lo
	s_and_b32 s15, s15, exec_lo
	s_or_b32 s13, s13, s15
.LBB2_572:                              ;   in Loop: Header=BB2_499 Depth=2
	s_or_b32 exec_lo, exec_lo, s14
	s_xor_b32 s13, s13, -1
	v_dual_mov_b32 v103, 0 :: v_dual_mov_b32 v44, v101
	v_cndmask_b32_e64 v8, 0, 1, s13
	v_mov_b32_e32 v45, v0
	s_mov_b32 s14, -1
	s_delay_alu instid0(VALU_DEP_2)
	v_cmp_ne_u32_e32 vcc_lo, 0, v8
	v_mov_b32_e32 v8, v60
	s_cbranch_vccz .LBB2_575
; %bb.573:                              ;   in Loop: Header=BB2_499 Depth=2
	s_and_saveexec_b32 s15, s14
	s_cbranch_execnz .LBB2_592
	s_branch .LBB2_602
.LBB2_574:                              ;   in Loop: Header=BB2_499 Depth=2
	s_mov_b32 s13, 0
	s_and_saveexec_b32 s14, s2
	s_cbranch_execnz .LBB2_633
	s_branch .LBB2_651
.LBB2_575:                              ;   in Loop: Header=BB2_499 Depth=2
	v_dual_ashrrev_i32 v8, 31, v101 :: v_dual_sub_nc_u32 v103, v101, v36
	s_mov_b32 s62, exec_lo
	s_delay_alu instid0(VALU_DEP_1) | instskip(NEXT) | instid1(VALU_DEP_1)
	v_lshrrev_b32_e32 v8, 23, v8
	v_add_nc_u32_e32 v8, v101, v8
	s_delay_alu instid0(VALU_DEP_1) | instskip(NEXT) | instid1(VALU_DEP_1)
	v_and_b32_e32 v73, 0xfffffe00, v8
	v_dual_ashrrev_i32 v8, 9, v8 :: v_dual_sub_nc_u32 v74, v101, v73
	s_delay_alu instid0(VALU_DEP_1) | instskip(NEXT) | instid1(VALU_DEP_1)
	v_cmp_lt_i32_e64 s13, 15, v74
	v_add_co_ci_u32_e64 v75, null, v8, v62, s13
	v_cmpx_lt_i32_e32 15, v103
	s_cbranch_execz .LBB2_581
; %bb.576:                              ;   in Loop: Header=BB2_499 Depth=2
	s_trap 2
	ds_load_b64 v[8:9], v0
	v_add_nc_u64_e32 v[40:41], v[116:117], v[36:37]
	v_add_nc_u64_e32 v[42:43], v[118:119], v[36:37]
	;; [unrolled: 1-line block ×3, first 2 shown]
	s_mov_b32 s63, 0
	s_wait_dscnt 0x0
	v_add_nc_u64_e32 v[46:47], v[8:9], v[36:37]
.LBB2_577:                              ;   Parent Loop BB2_47 Depth=1
                                        ;     Parent Loop BB2_499 Depth=2
                                        ; =>    This Loop Header: Depth=3
                                        ;         Child Loop BB2_578 Depth 4
	global_load_b128 v[8:11], v[44:45], off th:TH_LOAD_NT
	global_load_b128 v[76:79], v[46:47], off th:TH_LOAD_NT
	s_mov_b64 s[40:41], 0
	s_mov_b32 s72, -1
	s_wait_loadcnt 0x0
	v_dual_mul_f32 v8, v8, v76 :: v_dual_mul_f32 v9, v9, v77
	v_dual_mul_f32 v10, v10, v78 :: v_dual_mul_f32 v11, v11, v79
.LBB2_578:                              ;   Parent Loop BB2_47 Depth=1
                                        ;     Parent Loop BB2_499 Depth=2
                                        ;       Parent Loop BB2_577 Depth=3
                                        ; =>      This Inner Loop Header: Depth=4
	s_cmp_eq_u32 s40, 1
	s_cselect_b32 vcc_lo, -1, 0
	s_cmp_eq_u32 s40, 0
	s_wait_xcnt 0x0
	v_dual_cndmask_b32 v77, v41, v43 :: v_dual_cndmask_b32 v76, v40, v42
	s_cselect_b32 s14, -1, 0
	s_and_b32 s15, exec_lo, s72
	s_mov_b64 s[40:41], 1
	s_mov_b32 s72, 0
	v_add_nc_u64_e32 v[78:79], 0x200, v[76:77]
	global_store_b128 v[76:77], v[8:11], off th:TH_STORE_NT
	v_dual_cndmask_b32 v43, v43, v79 :: v_dual_cndmask_b32 v42, v42, v78
	v_dual_cndmask_b32 v41, v41, v79, s14 :: v_dual_cndmask_b32 v40, v40, v78, s14
	s_mov_b32 vcc_lo, s15
	s_cbranch_vccnz .LBB2_578
; %bb.579:                              ;   in Loop: Header=BB2_577 Depth=3
	v_sub_nc_u32_e32 v103, v103, v52
	s_wait_xcnt 0x2
	v_add_nc_u64_e32 v[44:45], v[44:45], v[70:71]
	s_wait_xcnt 0x1
	v_add_nc_u64_e32 v[46:47], v[46:47], v[70:71]
	v_add_nc_u64_e32 v[40:41], v[40:41], v[66:67]
	v_add_nc_u64_e32 v[42:43], v[42:43], v[66:67]
	v_cmp_gt_i32_e32 vcc_lo, 16, v103
	v_sub_nc_u32_e32 v75, v75, v32
	s_or_b32 s63, vcc_lo, s63
	s_wait_xcnt 0x0
	s_and_not1_b32 exec_lo, exec_lo, s63
	s_cbranch_execnz .LBB2_577
; %bb.580:                              ;   in Loop: Header=BB2_499 Depth=2
	s_or_b32 exec_lo, exec_lo, s63
.LBB2_581:                              ;   in Loop: Header=BB2_499 Depth=2
	s_delay_alu instid0(SALU_CYCLE_1) | instskip(SKIP_3) | instid1(VALU_DEP_1)
	s_or_b32 exec_lo, exec_lo, s62
	v_dual_mov_b32 v103, 0 :: v_dual_bitop2_b32 v9, 12, v101 bitop3:0x40
	s_mov_b32 s14, 0
	s_mov_b32 s62, exec_lo
                                        ; implicit-def: $vgpr44
                                        ; implicit-def: $vgpr45
                                        ; implicit-def: $vgpr8
	v_cndmask_b32_e64 v72, v74, v9, s13
	s_delay_alu instid0(VALU_DEP_1)
	v_cmpx_ne_u32_e32 0, v72
	s_cbranch_execz .LBB2_591
; %bb.582:                              ;   in Loop: Header=BB2_499 Depth=2
	v_cmp_lt_i32_e32 vcc_lo, 0, v75
	s_mov_b32 s63, exec_lo
	v_dual_ashrrev_i32 v11, 31, v72 :: v_dual_sub_nc_u32 v9, v74, v9
	s_delay_alu instid0(VALU_DEP_1) | instskip(NEXT) | instid1(VALU_DEP_1)
	v_dual_cndmask_b32 v8, 0, v32 :: v_dual_lshrrev_b32 v11, 23, v11
	v_dual_cndmask_b32 v9, 0, v9, s13 :: v_dual_sub_nc_u32 v8, v8, v75
	s_delay_alu instid0(VALU_DEP_1) | instskip(NEXT) | instid1(VALU_DEP_1)
	v_lshl_add_u32 v8, v8, 5, v61
	v_ashrrev_i32_e32 v10, 31, v8
	s_delay_alu instid0(VALU_DEP_1) | instskip(NEXT) | instid1(VALU_DEP_1)
	v_lshrrev_b32_e32 v10, 27, v10
	v_add_nc_u32_e32 v10, v8, v10
	s_delay_alu instid0(VALU_DEP_1) | instskip(NEXT) | instid1(VALU_DEP_1)
	v_and_b32_e32 v103, 0xffffffe0, v10
	v_sub_nc_u32_e32 v76, v8, v103
	v_dual_add_nc_u32 v11, v72, v11 :: v_dual_ashrrev_i32 v10, 5, v10
	s_delay_alu instid0(VALU_DEP_2) | instskip(NEXT) | instid1(VALU_DEP_2)
	v_lshlrev_b32_e32 v8, 4, v76
	v_and_b32_e32 v75, 0xfffffe00, v11
	s_delay_alu instid0(VALU_DEP_2) | instskip(NEXT) | instid1(VALU_DEP_2)
	v_lshl_add_u32 v8, v10, 9, v8
	v_sub_nc_u32_e32 v74, v72, v75
	s_delay_alu instid0(VALU_DEP_2) | instskip(NEXT) | instid1(VALU_DEP_2)
	v_dual_ashrrev_i32 v11, 9, v11 :: v_dual_sub_nc_u32 v103, v72, v8
	v_cmp_lt_i32_e64 s13, 15, v74
	s_delay_alu instid0(VALU_DEP_1) | instskip(NEXT) | instid1(VALU_DEP_1)
	v_add_co_ci_u32_e64 v11, null, 0, v11, s13
	v_dual_add_nc_u32 v73, v9, v73 :: v_dual_sub_nc_u32 v77, v11, v10
	s_delay_alu instid0(VALU_DEP_4)
	v_cmpx_lt_i32_e32 15, v103
	s_cbranch_execz .LBB2_588
; %bb.583:                              ;   in Loop: Header=BB2_499 Depth=2
	s_trap 2
	ds_load_b64 v[10:11], v0
	v_add_nc_u32_e32 v8, v8, v73
	s_mov_b32 s72, 0
	s_delay_alu instid0(VALU_DEP_1) | instskip(NEXT) | instid1(VALU_DEP_1)
	v_ashrrev_i32_e32 v9, 31, v8
	v_add_nc_u64_e32 v[40:41], v[8:9], v[116:117]
	v_add_nc_u64_e32 v[42:43], v[8:9], v[118:119]
	;; [unrolled: 1-line block ×3, first 2 shown]
	s_wait_dscnt 0x0
	v_add_nc_u64_e32 v[46:47], v[10:11], v[8:9]
.LBB2_584:                              ;   Parent Loop BB2_47 Depth=1
                                        ;     Parent Loop BB2_499 Depth=2
                                        ; =>    This Loop Header: Depth=3
                                        ;         Child Loop BB2_585 Depth 4
	global_load_b128 v[8:11], v[44:45], off th:TH_LOAD_NT
	global_load_b128 v[88:91], v[46:47], off th:TH_LOAD_NT
	s_mov_b64 s[40:41], 0
	s_mov_b32 s73, -1
	s_wait_loadcnt 0x0
	v_dual_mul_f32 v8, v8, v88 :: v_dual_mul_f32 v9, v9, v89
	v_dual_mul_f32 v10, v10, v90 :: v_dual_mul_f32 v11, v11, v91
.LBB2_585:                              ;   Parent Loop BB2_47 Depth=1
                                        ;     Parent Loop BB2_499 Depth=2
                                        ;       Parent Loop BB2_584 Depth=3
                                        ; =>      This Inner Loop Header: Depth=4
	s_cmp_eq_u32 s40, 1
	s_cselect_b32 vcc_lo, -1, 0
	s_cmp_eq_u32 s40, 0
	s_wait_xcnt 0x0
	v_dual_cndmask_b32 v79, v41, v43 :: v_dual_cndmask_b32 v78, v40, v42
	s_cselect_b32 s14, -1, 0
	s_and_b32 s15, exec_lo, s73
	s_mov_b64 s[40:41], 1
	s_mov_b32 s73, 0
	v_add_nc_u64_e32 v[88:89], 0x200, v[78:79]
	global_store_b128 v[78:79], v[8:11], off th:TH_STORE_NT
	v_dual_cndmask_b32 v43, v43, v89 :: v_dual_cndmask_b32 v42, v42, v88
	v_dual_cndmask_b32 v41, v41, v89, s14 :: v_dual_cndmask_b32 v40, v40, v88, s14
	s_mov_b32 vcc_lo, s15
	s_cbranch_vccnz .LBB2_585
; %bb.586:                              ;   in Loop: Header=BB2_584 Depth=3
	v_sub_nc_u32_e32 v103, v103, v52
	s_wait_xcnt 0x2
	v_add_nc_u64_e32 v[44:45], v[44:45], v[70:71]
	s_wait_xcnt 0x1
	v_add_nc_u64_e32 v[46:47], v[46:47], v[70:71]
	v_add_nc_u64_e32 v[40:41], v[40:41], v[66:67]
	;; [unrolled: 1-line block ×3, first 2 shown]
	v_cmp_gt_i32_e32 vcc_lo, 16, v103
	v_sub_nc_u32_e32 v77, v77, v32
	s_or_b32 s72, vcc_lo, s72
	s_wait_xcnt 0x0
	s_and_not1_b32 exec_lo, exec_lo, s72
	s_cbranch_execnz .LBB2_584
; %bb.587:                              ;   in Loop: Header=BB2_499 Depth=2
	s_or_b32 exec_lo, exec_lo, s72
.LBB2_588:                              ;   in Loop: Header=BB2_499 Depth=2
	s_delay_alu instid0(SALU_CYCLE_1) | instskip(SKIP_3) | instid1(VALU_DEP_1)
	s_or_b32 exec_lo, exec_lo, s63
	v_dual_mov_b32 v103, 0 :: v_dual_bitop2_b32 v9, 12, v72 bitop3:0x40
	s_mov_b32 s14, 0
	s_mov_b32 s15, exec_lo
                                        ; implicit-def: $vgpr45
                                        ; implicit-def: $vgpr8
	v_cndmask_b32_e64 v44, v74, v9, s13
	s_delay_alu instid0(VALU_DEP_1)
	v_cmpx_ne_u32_e32 0, v44
	s_cbranch_execz .LBB2_590
; %bb.589:                              ;   in Loop: Header=BB2_499 Depth=2
	v_cmp_lt_i32_e32 vcc_lo, 0, v77
	s_mov_b32 s14, exec_lo
	v_dual_cndmask_b32 v8, 0, v32 :: v_dual_sub_nc_u32 v9, v74, v9
	s_delay_alu instid0(VALU_DEP_1) | instskip(NEXT) | instid1(VALU_DEP_2)
	v_cndmask_b32_e64 v9, 0, v9, s13
	v_sub_nc_u32_e32 v8, v8, v77
	s_delay_alu instid0(VALU_DEP_2) | instskip(NEXT) | instid1(VALU_DEP_2)
	v_add3_u32 v103, v75, v73, v9
	v_lshl_add_u32 v45, v8, 5, v76
	s_delay_alu instid0(VALU_DEP_1) | instskip(NEXT) | instid1(VALU_DEP_1)
	v_ashrrev_i32_e32 v8, 31, v45
	v_lshrrev_b32_e32 v8, 27, v8
	s_delay_alu instid0(VALU_DEP_1) | instskip(NEXT) | instid1(VALU_DEP_1)
	v_add_nc_u32_e32 v8, v45, v8
	v_ashrrev_i32_e32 v8, 5, v8
.LBB2_590:                              ;   in Loop: Header=BB2_499 Depth=2
	s_or_b32 exec_lo, exec_lo, s15
	s_delay_alu instid0(SALU_CYCLE_1)
	s_and_b32 s14, s14, exec_lo
.LBB2_591:                              ;   in Loop: Header=BB2_499 Depth=2
	s_or_b32 exec_lo, exec_lo, s62
	s_and_saveexec_b32 s15, s14
	s_cbranch_execz .LBB2_602
.LBB2_592:                              ;   in Loop: Header=BB2_499 Depth=2
	v_ashrrev_i32_e32 v9, 31, v44
	s_mov_b32 s13, exec_lo
	s_delay_alu instid0(VALU_DEP_1) | instskip(NEXT) | instid1(VALU_DEP_1)
	v_lshrrev_b32_e32 v9, 24, v9
	v_add_nc_u32_e32 v9, v44, v9
	s_delay_alu instid0(VALU_DEP_1) | instskip(SKIP_1) | instid1(VALU_DEP_1)
	v_ashrrev_i32_e32 v72, 8, v9
	v_ashrrev_i32_e32 v9, 31, v45
	v_dual_lshrrev_b32 v47, 27, v9 :: v_dual_sub_nc_u32 v46, v72, v8
	s_delay_alu instid0(VALU_DEP_1)
	v_cmpx_lt_i32_e32 0, v46
	s_cbranch_execz .LBB2_596
; %bb.593:                              ;   in Loop: Header=BB2_499 Depth=2
	s_delay_alu instid0(VALU_DEP_2) | instskip(SKIP_4) | instid1(VALU_DEP_1)
	v_dual_add_nc_u32 v9, v45, v47 :: v_dual_lshlrev_b32 v8, 8, v8
	s_trap 2
	ds_load_b64 v[42:43], v0
	s_mov_b32 s14, 0
	v_and_b32_e32 v9, 0x3fffffe0, v9
	v_sub_nc_u32_e32 v9, v45, v9
	s_delay_alu instid0(VALU_DEP_1) | instskip(NEXT) | instid1(VALU_DEP_1)
	v_lshlrev_b32_e32 v9, 2, v9
	v_add3_u32 v74, v9, v103, v8
	s_delay_alu instid0(VALU_DEP_1) | instskip(NEXT) | instid1(VALU_DEP_1)
	v_ashrrev_i32_e32 v75, 31, v74
	v_add_nc_u64_e32 v[8:9], v[74:75], v[116:117]
	v_add_nc_u64_e32 v[10:11], v[74:75], v[118:119]
	;; [unrolled: 1-line block ×3, first 2 shown]
	s_wait_dscnt 0x0
	v_add_nc_u64_e32 v[42:43], v[42:43], v[74:75]
.LBB2_594:                              ;   Parent Loop BB2_47 Depth=1
                                        ;     Parent Loop BB2_499 Depth=2
                                        ; =>    This Inner Loop Header: Depth=3
	s_clause 0x1
	flat_load_b32 v73, v[40:41] th:TH_LOAD_NT
	flat_load_b32 v74, v[40:41] offset:128 th:TH_LOAD_NT
	s_clause 0x1
	flat_load_b32 v75, v[42:43] th:TH_LOAD_NT
	flat_load_b32 v76, v[42:43] offset:128 th:TH_LOAD_NT
	v_sub_nc_u32_e32 v46, v46, v32
	s_wait_xcnt 0x2
	v_add_nc_u64_e32 v[40:41], v[40:41], v[54:55]
	s_wait_xcnt 0x0
	v_add_nc_u64_e32 v[42:43], v[42:43], v[54:55]
	s_wait_loadcnt_dscnt 0x0
	v_dual_mul_f32 v73, v73, v75 :: v_dual_mul_f32 v74, v74, v76
	v_cmp_gt_i32_e32 vcc_lo, 1, v46
	s_clause 0x1
	flat_store_b32 v[8:9], v73 th:TH_STORE_NT
	flat_store_b32 v[8:9], v74 offset:128 th:TH_STORE_NT
	s_clause 0x1
	flat_store_b32 v[10:11], v73 th:TH_STORE_NT
	flat_store_b32 v[10:11], v74 offset:128 th:TH_STORE_NT
	s_wait_xcnt 0x2
	v_add_nc_u64_e32 v[8:9], v[8:9], v[54:55]
	s_wait_xcnt 0x0
	v_add_nc_u64_e32 v[10:11], v[10:11], v[54:55]
	s_or_b32 s14, vcc_lo, s14
	s_delay_alu instid0(SALU_CYCLE_1)
	s_and_not1_b32 exec_lo, exec_lo, s14
	s_cbranch_execnz .LBB2_594
; %bb.595:                              ;   in Loop: Header=BB2_499 Depth=2
	s_or_b32 exec_lo, exec_lo, s14
.LBB2_596:                              ;   in Loop: Header=BB2_499 Depth=2
	s_delay_alu instid0(SALU_CYCLE_1) | instskip(SKIP_1) | instid1(VALU_DEP_1)
	s_or_b32 exec_lo, exec_lo, s13
	v_lshlrev_b32_e32 v8, 8, v72
	v_cmp_ne_u32_e32 vcc_lo, v44, v8
	s_and_b32 exec_lo, exec_lo, vcc_lo
	s_cbranch_execz .LBB2_602
; %bb.597:                              ;   in Loop: Header=BB2_499 Depth=2
	v_dual_add_nc_u32 v9, v45, v47 :: v_dual_lshlrev_b32 v10, 5, v46
	s_delay_alu instid0(VALU_DEP_1) | instskip(NEXT) | instid1(VALU_DEP_1)
	v_and_b32_e32 v9, 0xffffffe0, v9
	v_sub_nc_u32_e32 v9, v45, v9
	s_delay_alu instid0(VALU_DEP_1) | instskip(NEXT) | instid1(VALU_DEP_1)
	v_sub_nc_u32_e32 v9, v9, v10
	v_ashrrev_i32_e32 v10, 31, v9
	s_delay_alu instid0(VALU_DEP_1) | instskip(NEXT) | instid1(VALU_DEP_1)
	v_lshrrev_b32_e32 v10, 27, v10
	v_add_nc_u32_e32 v10, v9, v10
	s_delay_alu instid0(VALU_DEP_1) | instskip(NEXT) | instid1(VALU_DEP_1)
	v_and_b32_e32 v11, 0x3fffffe0, v10
	v_dual_lshlrev_b32 v10, 2, v10 :: v_dual_sub_nc_u32 v9, v9, v11
	s_delay_alu instid0(VALU_DEP_1) | instskip(NEXT) | instid1(VALU_DEP_2)
	v_and_b32_e32 v10, 0xffffff80, v10
	v_lshlrev_b32_e32 v9, 2, v9
	s_delay_alu instid0(VALU_DEP_1) | instskip(NEXT) | instid1(VALU_DEP_1)
	v_add3_u32 v8, v10, v9, v8
	v_sub_nc_u32_e32 v42, v44, v8
	s_delay_alu instid0(VALU_DEP_1)
	v_cmp_lt_i32_e32 vcc_lo, 3, v42
	s_and_b32 exec_lo, exec_lo, vcc_lo
	s_cbranch_execz .LBB2_602
; %bb.598:                              ;   in Loop: Header=BB2_499 Depth=2
	s_trap 2
	ds_load_b64 v[40:41], v0
	v_add_nc_u32_e32 v44, v8, v103
	s_mov_b32 s62, 0
	s_delay_alu instid0(VALU_DEP_1) | instskip(NEXT) | instid1(VALU_DEP_1)
	v_ashrrev_i32_e32 v45, 31, v44
	v_add_nc_u64_e32 v[8:9], v[44:45], v[116:117]
	v_add_nc_u64_e32 v[10:11], v[44:45], v[118:119]
	;; [unrolled: 1-line block ×3, first 2 shown]
	s_wait_dscnt 0x0
	v_add_nc_u64_e32 v[40:41], v[40:41], v[44:45]
.LBB2_599:                              ;   Parent Loop BB2_47 Depth=1
                                        ;     Parent Loop BB2_499 Depth=2
                                        ; =>    This Loop Header: Depth=3
                                        ;         Child Loop BB2_600 Depth 4
	flat_load_b32 v103, v[118:119] th:TH_LOAD_NT
	flat_load_b32 v43, v[40:41] th:TH_LOAD_NT
	s_mov_b64 s[40:41], 0
	s_mov_b32 s63, -1
	s_wait_loadcnt_dscnt 0x0
	v_mul_f32_e32 v103, v103, v43
.LBB2_600:                              ;   Parent Loop BB2_47 Depth=1
                                        ;     Parent Loop BB2_499 Depth=2
                                        ;       Parent Loop BB2_599 Depth=3
                                        ; =>      This Inner Loop Header: Depth=4
	s_cmp_eq_u32 s40, 1
	s_cselect_b32 vcc_lo, -1, 0
	s_cmp_eq_u32 s40, 0
	s_wait_xcnt 0x0
	v_dual_cndmask_b32 v45, v9, v11 :: v_dual_cndmask_b32 v44, v8, v10
	s_cselect_b32 s13, -1, 0
	s_and_b32 s14, exec_lo, s63
	s_mov_b64 s[40:41], 1
	s_mov_b32 s63, 0
	v_add_nc_u64_e32 v[46:47], 0x80, v[44:45]
	flat_store_b32 v[44:45], v103 th:TH_STORE_NT
	v_dual_cndmask_b32 v11, v11, v47 :: v_dual_cndmask_b32 v10, v10, v46
	v_dual_cndmask_b32 v9, v9, v47, s13 :: v_dual_cndmask_b32 v8, v8, v46, s13
	s_mov_b32 vcc_lo, s14
	s_cbranch_vccnz .LBB2_600
; %bb.601:                              ;   in Loop: Header=BB2_599 Depth=3
	v_sub_nc_u32_e32 v42, v42, v64
	s_wait_xcnt 0x2
	v_add_nc_u64_e32 v[118:119], v[118:119], v[80:81]
	s_wait_xcnt 0x1
	v_add_nc_u64_e32 v[40:41], v[40:41], v[80:81]
	v_add_nc_u64_e32 v[8:9], v[8:9], v[68:69]
	;; [unrolled: 1-line block ×3, first 2 shown]
	v_cmp_gt_i32_e32 vcc_lo, 4, v42
	s_or_b32 s62, vcc_lo, s62
	s_wait_xcnt 0x0
	s_and_not1_b32 exec_lo, exec_lo, s62
	s_cbranch_execnz .LBB2_599
.LBB2_602:                              ;   in Loop: Header=BB2_499 Depth=2
	s_or_b32 exec_lo, exec_lo, s15
	s_mov_b32 s13, 0
.LBB2_603:                              ;   in Loop: Header=BB2_499 Depth=2
	s_delay_alu instid0(SALU_CYCLE_1)
	s_and_b32 vcc_lo, exec_lo, s13
	s_cbranch_vccz .LBB2_632
; %bb.604:                              ;   in Loop: Header=BB2_499 Depth=2
	s_mov_b32 s13, -1
	s_and_saveexec_b32 s14, s12
	s_cbranch_execz .LBB2_606
; %bb.605:                              ;   in Loop: Header=BB2_499 Depth=2
	ds_load_b32 v8, v0 offset:720
	s_wait_dscnt 0x0
	v_and_b32_e32 v8, 15, v8
	s_delay_alu instid0(VALU_DEP_1)
	v_cmp_eq_u32_e32 vcc_lo, 0, v8
	s_or_not1_b32 s13, vcc_lo, exec_lo
.LBB2_606:                              ;   in Loop: Header=BB2_499 Depth=2
	s_or_b32 exec_lo, exec_lo, s14
	s_and_saveexec_b32 s14, s10
	s_cbranch_execz .LBB2_608
; %bb.607:                              ;   in Loop: Header=BB2_499 Depth=2
	ds_load_b32 v8, v0 offset:784
	s_wait_dscnt 0x0
	v_and_b32_e32 v8, 15, v8
	s_delay_alu instid0(VALU_DEP_1) | instskip(SKIP_3) | instid1(SALU_CYCLE_1)
	v_cmp_eq_u32_e32 vcc_lo, 0, v8
	s_and_b32 s15, s13, vcc_lo
	s_and_not1_b32 s13, s13, exec_lo
	s_and_b32 s15, s15, exec_lo
	s_or_b32 s13, s13, s15
.LBB2_608:                              ;   in Loop: Header=BB2_499 Depth=2
	s_or_b32 exec_lo, exec_lo, s14
	s_xor_b32 s13, s13, -1
	v_mov_b32_e32 v103, 0
	v_cndmask_b32_e64 v8, 0, 1, s13
	s_mov_b32 s15, -1
	s_delay_alu instid0(VALU_DEP_1)
	v_cmp_ne_u32_e32 vcc_lo, 0, v8
	s_cbranch_vccz .LBB2_610
; %bb.609:                              ;   in Loop: Header=BB2_499 Depth=2
	v_dual_mov_b32 v40, v0 :: v_dual_mov_b32 v8, v60
	s_and_saveexec_b32 s13, s15
	s_cbranch_execnz .LBB2_623
	s_branch .LBB2_631
.LBB2_610:                              ;   in Loop: Header=BB2_499 Depth=2
	v_dual_ashrrev_i32 v8, 31, v101 :: v_dual_sub_nc_u32 v103, v101, v36
	s_mov_b32 s14, exec_lo
	s_delay_alu instid0(VALU_DEP_1) | instskip(NEXT) | instid1(VALU_DEP_1)
	v_lshrrev_b32_e32 v8, 23, v8
	v_add_nc_u32_e32 v8, v101, v8
	s_delay_alu instid0(VALU_DEP_1) | instskip(NEXT) | instid1(VALU_DEP_1)
	v_and_b32_e32 v42, 0xfffffe00, v8
	v_dual_ashrrev_i32 v8, 9, v8 :: v_dual_sub_nc_u32 v43, v101, v42
	s_delay_alu instid0(VALU_DEP_1) | instskip(NEXT) | instid1(VALU_DEP_2)
	v_cmp_lt_i32_e32 vcc_lo, 15, v43
	v_add_co_ci_u32_e64 v44, null, v8, v62, vcc_lo
	v_cmpx_lt_i32_e32 15, v103
	s_cbranch_execz .LBB2_614
; %bb.611:                              ;   in Loop: Header=BB2_499 Depth=2
	s_trap 2
	ds_load_b64 v[10:11], v0
	v_add_nc_u64_e32 v[8:9], v[114:115], v[36:37]
	v_add_nc_u64_e32 v[118:119], v[116:117], v[36:37]
	s_mov_b32 s15, 0
	s_wait_dscnt 0x0
	v_add_nc_u64_e32 v[10:11], v[10:11], v[36:37]
.LBB2_612:                              ;   Parent Loop BB2_47 Depth=1
                                        ;     Parent Loop BB2_499 Depth=2
                                        ; =>    This Inner Loop Header: Depth=3
	global_load_b128 v[72:75], v[8:9], off th:TH_LOAD_NT
	global_load_b128 v[76:79], v[10:11], off th:TH_LOAD_NT
	v_sub_nc_u32_e32 v103, v103, v52
	s_wait_xcnt 0x1
	v_add_nc_u64_e32 v[8:9], v[8:9], v[52:53]
	s_wait_xcnt 0x0
	v_add_nc_u64_e32 v[10:11], v[10:11], v[52:53]
	s_wait_loadcnt 0x0
	v_dual_mul_f32 v75, v75, v79 :: v_dual_sub_nc_u32 v44, v44, v32
	v_dual_mul_f32 v72, v72, v76 :: v_dual_mul_f32 v74, v74, v78
	v_mul_f32_e32 v73, v73, v77
	v_cmp_gt_i32_e64 s13, 16, v103
	global_store_b128 v[118:119], v[72:75], off th:TH_STORE_NT
	s_wait_xcnt 0x0
	v_add_nc_u64_e32 v[118:119], v[118:119], v[52:53]
	s_or_b32 s15, s13, s15
	s_delay_alu instid0(SALU_CYCLE_1)
	s_and_not1_b32 exec_lo, exec_lo, s15
	s_cbranch_execnz .LBB2_612
; %bb.613:                              ;   in Loop: Header=BB2_499 Depth=2
	s_or_b32 exec_lo, exec_lo, s15
.LBB2_614:                              ;   in Loop: Header=BB2_499 Depth=2
	s_delay_alu instid0(SALU_CYCLE_1) | instskip(SKIP_3) | instid1(VALU_DEP_1)
	s_or_b32 exec_lo, exec_lo, s14
	v_dual_mov_b32 v103, 0 :: v_dual_bitop2_b32 v9, 12, v101 bitop3:0x40
	s_mov_b32 s15, 0
	s_mov_b32 s14, exec_lo
                                        ; implicit-def: $vgpr101
                                        ; implicit-def: $vgpr40
                                        ; implicit-def: $vgpr8
	v_cndmask_b32_e32 v41, v43, v9, vcc_lo
	s_delay_alu instid0(VALU_DEP_1)
	v_cmpx_ne_u32_e32 0, v41
	s_cbranch_execz .LBB2_622
; %bb.615:                              ;   in Loop: Header=BB2_499 Depth=2
	v_cmp_lt_i32_e64 s13, 0, v44
	s_mov_b32 s15, exec_lo
	v_dual_ashrrev_i32 v11, 31, v41 :: v_dual_cndmask_b32 v8, 0, v32, s13
	s_delay_alu instid0(VALU_DEP_1) | instskip(NEXT) | instid1(VALU_DEP_1)
	v_dual_lshrrev_b32 v11, 23, v11 :: v_dual_sub_nc_u32 v8, v8, v44
	v_dual_add_nc_u32 v11, v41, v11 :: v_dual_sub_nc_u32 v9, v43, v9
	s_delay_alu instid0(VALU_DEP_2) | instskip(NEXT) | instid1(VALU_DEP_2)
	v_lshl_add_u32 v8, v8, 5, v61
	v_and_b32_e32 v44, 0xfffffe00, v11
	s_delay_alu instid0(VALU_DEP_2) | instskip(NEXT) | instid1(VALU_DEP_1)
	v_dual_ashrrev_i32 v11, 9, v11 :: v_dual_ashrrev_i32 v10, 31, v8
	v_dual_sub_nc_u32 v43, v41, v44 :: v_dual_lshrrev_b32 v10, 27, v10
	s_delay_alu instid0(VALU_DEP_1) | instskip(NEXT) | instid1(VALU_DEP_1)
	v_add_nc_u32_e32 v10, v8, v10
	v_and_b32_e32 v101, 0xffffffe0, v10
	s_delay_alu instid0(VALU_DEP_1) | instskip(NEXT) | instid1(VALU_DEP_1)
	v_dual_ashrrev_i32 v10, 5, v10 :: v_dual_sub_nc_u32 v45, v8, v101
	v_lshlrev_b32_e32 v8, 4, v45
	s_delay_alu instid0(VALU_DEP_1) | instskip(SKIP_2) | instid1(VALU_DEP_3)
	v_lshl_add_u32 v8, v10, 9, v8
	v_cndmask_b32_e32 v9, 0, v9, vcc_lo
	v_cmp_lt_i32_e32 vcc_lo, 15, v43
	v_sub_nc_u32_e32 v101, v41, v8
	s_delay_alu instid0(VALU_DEP_3) | instskip(SKIP_1) | instid1(VALU_DEP_1)
	v_add_nc_u32_e32 v42, v9, v42
	v_add_co_ci_u32_e64 v11, null, 0, v11, vcc_lo
	v_sub_nc_u32_e32 v46, v11, v10
	s_delay_alu instid0(VALU_DEP_4)
	v_cmpx_lt_i32_e32 15, v101
	s_cbranch_execz .LBB2_619
; %bb.616:                              ;   in Loop: Header=BB2_499 Depth=2
	s_trap 2
	ds_load_b64 v[10:11], v0
	v_add_nc_u32_e32 v118, v8, v42
	s_mov_b32 s40, 0
	s_delay_alu instid0(VALU_DEP_1) | instskip(NEXT) | instid1(VALU_DEP_1)
	v_ashrrev_i32_e32 v119, 31, v118
	v_add_nc_u64_e32 v[8:9], v[118:119], v[114:115]
	s_wait_dscnt 0x0
	v_add_nc_u64_e32 v[10:11], v[10:11], v[118:119]
	v_add_nc_u64_e32 v[118:119], v[118:119], v[116:117]
.LBB2_617:                              ;   Parent Loop BB2_47 Depth=1
                                        ;     Parent Loop BB2_499 Depth=2
                                        ; =>    This Inner Loop Header: Depth=3
	global_load_b128 v[72:75], v[8:9], off th:TH_LOAD_NT
	global_load_b128 v[76:79], v[10:11], off th:TH_LOAD_NT
	v_sub_nc_u32_e32 v101, v101, v52
	s_wait_xcnt 0x1
	v_add_nc_u64_e32 v[8:9], v[8:9], v[52:53]
	s_wait_xcnt 0x0
	v_add_nc_u64_e32 v[10:11], v[10:11], v[52:53]
	s_wait_loadcnt 0x0
	v_dual_mul_f32 v75, v75, v79 :: v_dual_sub_nc_u32 v46, v46, v32
	v_dual_mul_f32 v72, v72, v76 :: v_dual_mul_f32 v73, v73, v77
	v_mul_f32_e32 v74, v74, v78
	v_cmp_gt_i32_e64 s13, 16, v101
	global_store_b128 v[118:119], v[72:75], off th:TH_STORE_NT
	s_wait_xcnt 0x0
	v_add_nc_u64_e32 v[118:119], v[118:119], v[52:53]
	s_or_b32 s40, s13, s40
	s_delay_alu instid0(SALU_CYCLE_1)
	s_and_not1_b32 exec_lo, exec_lo, s40
	s_cbranch_execnz .LBB2_617
; %bb.618:                              ;   in Loop: Header=BB2_499 Depth=2
	s_or_b32 exec_lo, exec_lo, s40
.LBB2_619:                              ;   in Loop: Header=BB2_499 Depth=2
	s_delay_alu instid0(SALU_CYCLE_1) | instskip(SKIP_3) | instid1(VALU_DEP_1)
	s_or_b32 exec_lo, exec_lo, s15
	v_dual_mov_b32 v103, 0 :: v_dual_bitop2_b32 v9, 12, v41 bitop3:0x40
	s_mov_b32 s15, 0
	s_mov_b32 s40, exec_lo
                                        ; implicit-def: $vgpr40
                                        ; implicit-def: $vgpr8
	v_cndmask_b32_e32 v101, v43, v9, vcc_lo
	s_delay_alu instid0(VALU_DEP_1)
	v_cmpx_ne_u32_e32 0, v101
	s_cbranch_execz .LBB2_621
; %bb.620:                              ;   in Loop: Header=BB2_499 Depth=2
	v_cmp_lt_i32_e64 s13, 0, v46
	s_mov_b32 s15, exec_lo
	v_dual_sub_nc_u32 v9, v43, v9 :: v_dual_cndmask_b32 v8, 0, v32, s13
	s_delay_alu instid0(VALU_DEP_1) | instskip(NEXT) | instid1(VALU_DEP_1)
	v_dual_cndmask_b32 v9, 0, v9 :: v_dual_sub_nc_u32 v8, v8, v46
	v_add3_u32 v103, v44, v42, v9
	s_delay_alu instid0(VALU_DEP_2) | instskip(NEXT) | instid1(VALU_DEP_1)
	v_lshl_add_u32 v40, v8, 5, v45
	v_ashrrev_i32_e32 v8, 31, v40
	s_delay_alu instid0(VALU_DEP_1) | instskip(NEXT) | instid1(VALU_DEP_1)
	v_lshrrev_b32_e32 v8, 27, v8
	v_add_nc_u32_e32 v8, v40, v8
	s_delay_alu instid0(VALU_DEP_1)
	v_ashrrev_i32_e32 v8, 5, v8
.LBB2_621:                              ;   in Loop: Header=BB2_499 Depth=2
	s_or_b32 exec_lo, exec_lo, s40
	s_delay_alu instid0(SALU_CYCLE_1)
	s_and_b32 s15, s15, exec_lo
.LBB2_622:                              ;   in Loop: Header=BB2_499 Depth=2
	s_or_b32 exec_lo, exec_lo, s14
	s_and_saveexec_b32 s13, s15
	s_cbranch_execz .LBB2_631
.LBB2_623:                              ;   in Loop: Header=BB2_499 Depth=2
	v_ashrrev_i32_e32 v9, 31, v101
	s_mov_b32 s14, exec_lo
	s_delay_alu instid0(VALU_DEP_1) | instskip(NEXT) | instid1(VALU_DEP_1)
	v_lshrrev_b32_e32 v9, 24, v9
	v_add_nc_u32_e32 v9, v101, v9
	s_delay_alu instid0(VALU_DEP_1) | instskip(NEXT) | instid1(VALU_DEP_1)
	v_dual_ashrrev_i32 v43, 8, v9 :: v_dual_ashrrev_i32 v9, 31, v40
	v_dual_sub_nc_u32 v41, v43, v8 :: v_dual_lshrrev_b32 v42, 27, v9
	s_delay_alu instid0(VALU_DEP_1)
	v_cmpx_lt_i32_e32 0, v41
	s_cbranch_execz .LBB2_627
; %bb.624:                              ;   in Loop: Header=BB2_499 Depth=2
	s_delay_alu instid0(VALU_DEP_2) | instskip(SKIP_4) | instid1(VALU_DEP_1)
	v_dual_add_nc_u32 v9, v40, v42 :: v_dual_lshlrev_b32 v8, 8, v8
	s_trap 2
	ds_load_b64 v[10:11], v0
	s_mov_b32 s15, 0
	v_and_b32_e32 v9, 0x3fffffe0, v9
	v_sub_nc_u32_e32 v9, v40, v9
	s_delay_alu instid0(VALU_DEP_1) | instskip(NEXT) | instid1(VALU_DEP_1)
	v_lshlrev_b32_e32 v9, 2, v9
	v_add3_u32 v118, v9, v103, v8
	s_delay_alu instid0(VALU_DEP_1) | instskip(NEXT) | instid1(VALU_DEP_1)
	v_ashrrev_i32_e32 v119, 31, v118
	v_add_nc_u64_e32 v[8:9], v[118:119], v[114:115]
	s_wait_dscnt 0x0
	v_add_nc_u64_e32 v[10:11], v[10:11], v[118:119]
	v_add_nc_u64_e32 v[118:119], v[118:119], v[116:117]
.LBB2_625:                              ;   Parent Loop BB2_47 Depth=1
                                        ;     Parent Loop BB2_499 Depth=2
                                        ; =>    This Inner Loop Header: Depth=3
	s_clause 0x1
	flat_load_b32 v44, v[8:9] th:TH_LOAD_NT
	flat_load_b32 v45, v[8:9] offset:128 th:TH_LOAD_NT
	s_clause 0x1
	flat_load_b32 v46, v[10:11] th:TH_LOAD_NT
	flat_load_b32 v47, v[10:11] offset:128 th:TH_LOAD_NT
	v_sub_nc_u32_e32 v41, v41, v32
	s_wait_xcnt 0x2
	v_add_nc_u64_e32 v[8:9], v[8:9], v[54:55]
	s_wait_xcnt 0x0
	v_add_nc_u64_e32 v[10:11], v[10:11], v[54:55]
	s_wait_loadcnt_dscnt 0x0
	v_dual_mul_f32 v44, v44, v46 :: v_dual_mul_f32 v45, v45, v47
	v_cmp_gt_i32_e32 vcc_lo, 1, v41
	s_clause 0x1
	flat_store_b32 v[118:119], v44 th:TH_STORE_NT
	flat_store_b32 v[118:119], v45 offset:128 th:TH_STORE_NT
	s_wait_xcnt 0x0
	v_add_nc_u64_e32 v[118:119], v[118:119], v[54:55]
	s_or_b32 s15, vcc_lo, s15
	s_delay_alu instid0(SALU_CYCLE_1)
	s_and_not1_b32 exec_lo, exec_lo, s15
	s_cbranch_execnz .LBB2_625
; %bb.626:                              ;   in Loop: Header=BB2_499 Depth=2
	s_or_b32 exec_lo, exec_lo, s15
.LBB2_627:                              ;   in Loop: Header=BB2_499 Depth=2
	s_delay_alu instid0(SALU_CYCLE_1) | instskip(SKIP_1) | instid1(VALU_DEP_1)
	s_or_b32 exec_lo, exec_lo, s14
	v_lshlrev_b32_e32 v8, 8, v43
	v_cmp_ne_u32_e32 vcc_lo, v101, v8
	s_and_b32 exec_lo, exec_lo, vcc_lo
	s_cbranch_execz .LBB2_631
; %bb.628:                              ;   in Loop: Header=BB2_499 Depth=2
	v_dual_add_nc_u32 v9, v40, v42 :: v_dual_lshlrev_b32 v10, 5, v41
	s_delay_alu instid0(VALU_DEP_1) | instskip(NEXT) | instid1(VALU_DEP_1)
	v_and_b32_e32 v9, 0xffffffe0, v9
	v_sub_nc_u32_e32 v9, v40, v9
	s_delay_alu instid0(VALU_DEP_1) | instskip(NEXT) | instid1(VALU_DEP_1)
	v_sub_nc_u32_e32 v9, v9, v10
	v_ashrrev_i32_e32 v10, 31, v9
	s_delay_alu instid0(VALU_DEP_1) | instskip(NEXT) | instid1(VALU_DEP_1)
	v_lshrrev_b32_e32 v10, 27, v10
	v_add_nc_u32_e32 v10, v9, v10
	s_delay_alu instid0(VALU_DEP_1) | instskip(NEXT) | instid1(VALU_DEP_1)
	v_and_b32_e32 v11, 0x3fffffe0, v10
	v_dual_lshlrev_b32 v10, 2, v10 :: v_dual_sub_nc_u32 v9, v9, v11
	s_delay_alu instid0(VALU_DEP_1) | instskip(NEXT) | instid1(VALU_DEP_2)
	v_and_b32_e32 v10, 0xffffff80, v10
	v_lshlrev_b32_e32 v9, 2, v9
	s_delay_alu instid0(VALU_DEP_1) | instskip(NEXT) | instid1(VALU_DEP_1)
	v_add3_u32 v8, v10, v9, v8
	v_sub_nc_u32_e32 v101, v101, v8
	s_delay_alu instid0(VALU_DEP_1)
	v_cmp_lt_i32_e32 vcc_lo, 3, v101
	s_and_b32 exec_lo, exec_lo, vcc_lo
	s_cbranch_execz .LBB2_631
; %bb.629:                              ;   in Loop: Header=BB2_499 Depth=2
	s_trap 2
	ds_load_b64 v[10:11], v0
	v_add_nc_u32_e32 v118, v8, v103
	s_mov_b32 s14, 0
	s_delay_alu instid0(VALU_DEP_1) | instskip(NEXT) | instid1(VALU_DEP_1)
	v_ashrrev_i32_e32 v119, 31, v118
	v_add_nc_u64_e32 v[8:9], v[118:119], v[114:115]
	v_add_nc_u64_e32 v[114:115], v[118:119], v[116:117]
	s_wait_dscnt 0x0
	v_add_nc_u64_e32 v[10:11], v[10:11], v[118:119]
.LBB2_630:                              ;   Parent Loop BB2_47 Depth=1
                                        ;     Parent Loop BB2_499 Depth=2
                                        ; =>    This Inner Loop Header: Depth=3
	flat_load_b32 v103, v[8:9] th:TH_LOAD_NT
	flat_load_b32 v116, v[10:11] th:TH_LOAD_NT
	v_sub_nc_u32_e32 v101, v101, v64
	s_wait_xcnt 0x1
	v_add_nc_u64_e32 v[8:9], v[8:9], v[64:65]
	s_wait_xcnt 0x0
	v_add_nc_u64_e32 v[10:11], v[10:11], v[64:65]
	v_cmp_gt_i32_e32 vcc_lo, 4, v101
	s_or_b32 s14, vcc_lo, s14
	s_wait_loadcnt_dscnt 0x0
	v_mul_f32_e32 v103, v103, v116
	flat_store_b32 v[114:115], v103 th:TH_STORE_NT
	s_wait_xcnt 0x0
	v_add_nc_u64_e32 v[114:115], v[114:115], v[64:65]
	s_and_not1_b32 exec_lo, exec_lo, s14
	s_cbranch_execnz .LBB2_630
.LBB2_631:                              ;   in Loop: Header=BB2_499 Depth=2
	s_or_b32 exec_lo, exec_lo, s13
.LBB2_632:                              ;   in Loop: Header=BB2_499 Depth=2
	v_cmp_lt_i32_e64 s13, 0, v2
	s_and_saveexec_b32 s14, s2
	s_cbranch_execz .LBB2_651
.LBB2_633:                              ;   in Loop: Header=BB2_499 Depth=2
	s_and_saveexec_b32 s15, s3
	s_delay_alu instid0(SALU_CYCLE_1)
	s_xor_b32 s15, exec_lo, s15
	s_cbranch_execz .LBB2_648
; %bb.634:                              ;   in Loop: Header=BB2_499 Depth=2
	s_and_saveexec_b32 s40, s6
	s_cbranch_execz .LBB2_647
; %bb.635:                              ;   in Loop: Header=BB2_499 Depth=2
	s_mov_b32 s62, exec_lo
	s_mov_b32 s41, exec_lo
	v_mbcnt_lo_u32_b32 v2, s62, 0
	global_wb scope:SCOPE_DEV
	s_wait_storecnt 0x0
	s_wait_loadcnt_dscnt 0x0
	global_inv scope:SCOPE_DEV
	v_cmpx_eq_u32_e32 0, v2
	s_cbranch_execz .LBB2_637
; %bb.636:                              ;   in Loop: Header=BB2_499 Depth=2
	s_bcnt1_i32_b32 s62, s62
	s_delay_alu instid0(SALU_CYCLE_1)
	v_mov_b32_e32 v2, s62
	s_wait_loadcnt 0x0
	ds_add_u64 v0, v[2:3]
	s_trap 2
.LBB2_637:                              ;   in Loop: Header=BB2_499 Depth=2
	s_or_b32 exec_lo, exec_lo, s41
	s_trap 2
	ds_load_b64 v[8:9], v0
	s_wait_dscnt 0x0
	v_add_nc_u64_e32 v[12:13], v[12:13], v[32:33]
	s_mov_b32 s41, exec_lo
	s_delay_alu instid0(VALU_DEP_1)
	v_cmpx_lt_u64_e64 v[8:9], v[12:13]
	s_cbranch_execz .LBB2_646
; %bb.638:                              ;   in Loop: Header=BB2_499 Depth=2
	s_mov_b32 s62, 0
	s_mov_b32 s73, 0
                                        ; implicit-def: $sgpr63
                                        ; implicit-def: $sgpr72
	s_branch .LBB2_640
.LBB2_639:                              ;   in Loop: Header=BB2_640 Depth=3
	s_or_b32 exec_lo, exec_lo, s75
	s_delay_alu instid0(SALU_CYCLE_1) | instskip(NEXT) | instid1(SALU_CYCLE_1)
	s_and_b32 s74, exec_lo, s76
	s_or_b32 s62, s74, s62
	s_and_not1_b32 s63, s63, exec_lo
	s_and_b32 s74, s72, exec_lo
	s_delay_alu instid0(SALU_CYCLE_1)
	s_or_b32 s63, s63, s74
	s_and_not1_b32 exec_lo, exec_lo, s62
	s_cbranch_execz .LBB2_644
.LBB2_640:                              ;   Parent Loop BB2_47 Depth=1
                                        ;     Parent Loop BB2_499 Depth=2
                                        ; =>    This Inner Loop Header: Depth=3
	s_add_co_i32 s73, s73, 1
	s_delay_alu instid0(SALU_CYCLE_1) | instskip(SKIP_1) | instid1(SALU_CYCLE_1)
	s_cmp_lg_u32 s73, 0x2710
	s_cselect_b32 s74, -1, 0
	s_and_b32 vcc_lo, exec_lo, s74
	s_cbranch_vccz .LBB2_642
; %bb.641:                              ;   in Loop: Header=BB2_640 Depth=3
	s_mov_b32 s76, -1
	s_or_b32 s72, s72, exec_lo
	s_and_saveexec_b32 s75, s74
	s_cbranch_execz .LBB2_639
	s_branch .LBB2_643
.LBB2_642:                              ;   in Loop: Header=BB2_640 Depth=3
	s_trap 2
	ds_load_b64 v[8:9], v0
	s_and_not1_b32 s74, s74, exec_lo
	s_mov_b32 s73, 0
	s_wait_loadcnt_dscnt 0x0
	flat_load_b32 v2, v[8:9] scope:SCOPE_SYS
	s_wait_loadcnt_dscnt 0x0
	global_inv scope:SCOPE_SYS
	v_cmp_eq_u32_e32 vcc_lo, 0, v2
	s_and_b32 s75, vcc_lo, exec_lo
	s_delay_alu instid0(SALU_CYCLE_1)
	s_or_b32 s74, s74, s75
	s_mov_b32 s76, -1
	s_or_b32 s72, s72, exec_lo
	s_and_saveexec_b32 s75, s74
	s_cbranch_execz .LBB2_639
.LBB2_643:                              ;   in Loop: Header=BB2_640 Depth=3
	s_sleep 1
	s_trap 2
	ds_load_b64 v[8:9], v0
	s_wait_dscnt 0x0
	s_and_not1_b32 s72, s72, exec_lo
	v_cmp_ge_u64_e32 vcc_lo, v[8:9], v[12:13]
	s_or_not1_b32 s76, vcc_lo, exec_lo
	s_branch .LBB2_639
.LBB2_644:                              ;   in Loop: Header=BB2_499 Depth=2
	s_or_b32 exec_lo, exec_lo, s62
	s_and_saveexec_b32 s62, s63
	s_delay_alu instid0(SALU_CYCLE_1)
	s_xor_b32 s62, exec_lo, s62
	s_cbranch_execz .LBB2_646
; %bb.645:                              ;   in Loop: Header=BB2_499 Depth=2
	ds_store_b32 v0, v57
	s_trap 2
.LBB2_646:                              ;   in Loop: Header=BB2_499 Depth=2
	s_or_b32 exec_lo, exec_lo, s41
	;;#ASMSTART
	s_wakeup
	;;#ASMEND
.LBB2_647:                              ;   in Loop: Header=BB2_499 Depth=2
	s_or_b32 exec_lo, exec_lo, s40
.LBB2_648:                              ;   in Loop: Header=BB2_499 Depth=2
	s_and_not1_saveexec_b32 s15, s15
	s_cbranch_execz .LBB2_650
; %bb.649:                              ;   in Loop: Header=BB2_499 Depth=2
	global_wb scope:SCOPE_DEV
	s_wait_storecnt 0x0
	s_wait_loadcnt_dscnt 0x0
	global_inv scope:SCOPE_DEV
	s_barrier_signal -1
	s_barrier_wait -1
.LBB2_650:                              ;   in Loop: Header=BB2_499 Depth=2
	s_or_b32 exec_lo, exec_lo, s15
.LBB2_651:                              ;   in Loop: Header=BB2_499 Depth=2
	s_delay_alu instid0(SALU_CYCLE_1) | instskip(SKIP_2) | instid1(SALU_CYCLE_1)
	s_or_b32 exec_lo, exec_lo, s14
	v_and_b32_e32 v8, 16, v30
	s_and_saveexec_b32 s14, s7
	s_xor_b32 s14, exec_lo, s14
	s_cbranch_execz .LBB2_655
; %bb.652:                              ;   in Loop: Header=BB2_499 Depth=2
	v_and_b32_e32 v2, 16, v30
	v_and_b32_e32 v8, 16, v30
	s_delay_alu instid0(VALU_DEP_2) | instskip(SKIP_1) | instid1(SALU_CYCLE_1)
	v_cmp_ne_u32_e32 vcc_lo, 0, v2
	s_and_b32 s15, vcc_lo, s13
	s_and_saveexec_b32 s13, s15
	s_cbranch_execz .LBB2_654
; %bb.653:                              ;   in Loop: Header=BB2_499 Depth=2
	v_mov_b32_e32 v8, 1
	global_wb scope:SCOPE_SYS
	s_wait_storecnt 0x0
	s_wait_loadcnt_dscnt 0x0
	global_inv scope:SCOPE_SYS
.LBB2_654:                              ;   in Loop: Header=BB2_499 Depth=2
	s_or_b32 exec_lo, exec_lo, s13
.LBB2_655:                              ;   in Loop: Header=BB2_499 Depth=2
	s_and_not1_saveexec_b32 s13, s14
	s_cbranch_execz .LBB2_674
; %bb.656:                              ;   in Loop: Header=BB2_499 Depth=2
	s_and_saveexec_b32 s14, s3
	s_delay_alu instid0(SALU_CYCLE_1)
	s_xor_b32 s14, exec_lo, s14
	s_cbranch_execz .LBB2_671
; %bb.657:                              ;   in Loop: Header=BB2_499 Depth=2
	s_and_saveexec_b32 s15, s6
	s_cbranch_execz .LBB2_670
; %bb.658:                              ;   in Loop: Header=BB2_499 Depth=2
	s_mov_b32 s41, exec_lo
	s_mov_b32 s40, exec_lo
	v_mbcnt_lo_u32_b32 v2, s41, 0
	;;#ASMSTART
	s_waitcnt lgkmcnt(0) vmcnt(0)
	;;#ASMEND
	s_delay_alu instid0(VALU_DEP_1)
	v_cmpx_eq_u32_e32 0, v2
	s_cbranch_execz .LBB2_660
; %bb.659:                              ;   in Loop: Header=BB2_499 Depth=2
	s_bcnt1_i32_b32 s41, s41
	s_delay_alu instid0(SALU_CYCLE_1)
	v_mov_b32_e32 v2, s41
	s_wait_storecnt 0x0
	s_wait_loadcnt_dscnt 0x0
	ds_add_u64 v0, v[2:3]
	s_trap 2
.LBB2_660:                              ;   in Loop: Header=BB2_499 Depth=2
	s_or_b32 exec_lo, exec_lo, s40
	s_trap 2
	ds_load_b64 v[10:11], v0
	s_wait_dscnt 0x0
	v_add_nc_u64_e32 v[12:13], v[12:13], v[32:33]
	s_mov_b32 s40, exec_lo
	s_delay_alu instid0(VALU_DEP_1)
	v_cmpx_lt_u64_e64 v[10:11], v[12:13]
	s_cbranch_execz .LBB2_669
; %bb.661:                              ;   in Loop: Header=BB2_499 Depth=2
	s_mov_b32 s41, 0
	s_mov_b32 s72, 0
                                        ; implicit-def: $sgpr62
                                        ; implicit-def: $sgpr63
	s_branch .LBB2_663
.LBB2_662:                              ;   in Loop: Header=BB2_663 Depth=3
	s_or_b32 exec_lo, exec_lo, s74
	s_delay_alu instid0(SALU_CYCLE_1) | instskip(NEXT) | instid1(SALU_CYCLE_1)
	s_and_b32 s73, exec_lo, s75
	s_or_b32 s41, s73, s41
	s_and_not1_b32 s62, s62, exec_lo
	s_and_b32 s73, s63, exec_lo
	s_delay_alu instid0(SALU_CYCLE_1)
	s_or_b32 s62, s62, s73
	s_and_not1_b32 exec_lo, exec_lo, s41
	s_cbranch_execz .LBB2_667
.LBB2_663:                              ;   Parent Loop BB2_47 Depth=1
                                        ;     Parent Loop BB2_499 Depth=2
                                        ; =>    This Inner Loop Header: Depth=3
	s_add_co_i32 s72, s72, 1
	s_delay_alu instid0(SALU_CYCLE_1) | instskip(SKIP_1) | instid1(SALU_CYCLE_1)
	s_cmp_lg_u32 s72, 0x2710
	s_cselect_b32 s73, -1, 0
	s_and_b32 vcc_lo, exec_lo, s73
	s_cbranch_vccz .LBB2_665
; %bb.664:                              ;   in Loop: Header=BB2_663 Depth=3
	s_mov_b32 s75, -1
	s_or_b32 s63, s63, exec_lo
	s_and_saveexec_b32 s74, s73
	s_cbranch_execz .LBB2_662
	s_branch .LBB2_666
.LBB2_665:                              ;   in Loop: Header=BB2_663 Depth=3
	s_trap 2
	ds_load_b64 v[10:11], v0
	s_and_not1_b32 s73, s73, exec_lo
	s_mov_b32 s72, 0
	s_wait_storecnt 0x0
	s_wait_loadcnt_dscnt 0x0
	flat_load_b32 v2, v[10:11] scope:SCOPE_SYS
	s_wait_loadcnt_dscnt 0x0
	global_inv scope:SCOPE_SYS
	v_cmp_eq_u32_e32 vcc_lo, 0, v2
	s_and_b32 s74, vcc_lo, exec_lo
	s_delay_alu instid0(SALU_CYCLE_1)
	s_or_b32 s73, s73, s74
	s_mov_b32 s75, -1
	s_or_b32 s63, s63, exec_lo
	s_and_saveexec_b32 s74, s73
	s_cbranch_execz .LBB2_662
.LBB2_666:                              ;   in Loop: Header=BB2_663 Depth=3
	s_sleep 1
	s_trap 2
	ds_load_b64 v[10:11], v0
	s_wait_dscnt 0x0
	s_and_not1_b32 s63, s63, exec_lo
	v_cmp_ge_u64_e32 vcc_lo, v[10:11], v[12:13]
	s_or_not1_b32 s75, vcc_lo, exec_lo
	s_branch .LBB2_662
.LBB2_667:                              ;   in Loop: Header=BB2_499 Depth=2
	s_or_b32 exec_lo, exec_lo, s41
	s_and_saveexec_b32 s41, s62
	s_delay_alu instid0(SALU_CYCLE_1)
	s_xor_b32 s41, exec_lo, s41
	s_cbranch_execz .LBB2_669
; %bb.668:                              ;   in Loop: Header=BB2_499 Depth=2
	ds_store_b32 v0, v57
	s_trap 2
.LBB2_669:                              ;   in Loop: Header=BB2_499 Depth=2
	s_or_b32 exec_lo, exec_lo, s40
	;;#ASMSTART
	s_wakeup
	;;#ASMEND
.LBB2_670:                              ;   in Loop: Header=BB2_499 Depth=2
	s_or_b32 exec_lo, exec_lo, s15
.LBB2_671:                              ;   in Loop: Header=BB2_499 Depth=2
	s_and_not1_saveexec_b32 s14, s14
	s_cbranch_execz .LBB2_673
; %bb.672:                              ;   in Loop: Header=BB2_499 Depth=2
	;;#ASMSTART
	s_waitcnt lgkmcnt(0) vmcnt(0)
	;;#ASMEND
	s_barrier_signal -1
	s_barrier_wait -1
.LBB2_673:                              ;   in Loop: Header=BB2_499 Depth=2
	s_or_b32 exec_lo, exec_lo, s14
.LBB2_674:                              ;   in Loop: Header=BB2_499 Depth=2
	s_delay_alu instid0(SALU_CYCLE_1) | instskip(SKIP_2) | instid1(SALU_CYCLE_1)
	s_or_b32 exec_lo, exec_lo, s13
	v_cmp_ne_u32_e32 vcc_lo, 0, v8
	s_xor_b32 s13, s4, -1
	s_and_b32 s14, vcc_lo, s13
	s_delay_alu instid0(SALU_CYCLE_1)
	s_and_saveexec_b32 s13, s14
	s_cbranch_execz .LBB2_676
; %bb.675:                              ;   in Loop: Header=BB2_499 Depth=2
	global_wb scope:SCOPE_SYS
	s_wait_storecnt 0x0
	s_wait_loadcnt_dscnt 0x0
	flat_store_b32 v[26:27], v57 scope:SCOPE_SYS
.LBB2_676:                              ;   in Loop: Header=BB2_499 Depth=2
	s_wait_xcnt 0x0
	s_or_b32 exec_lo, exec_lo, s13
	v_and_b32_e32 v2, 48, v30
	s_mov_b32 s13, exec_lo
	s_delay_alu instid0(VALU_DEP_1)
	v_cmpx_ne_u32_e32 0, v2
	s_cbranch_execz .LBB2_498
; %bb.677:                              ;   in Loop: Header=BB2_499 Depth=2
	v_add_nc_u64_e32 v[86:87], 2, v[86:87]
	global_wb scope:SCOPE_SYS
	s_wait_storecnt 0x0
	s_wait_loadcnt_dscnt 0x0
	flat_store_b64 v[20:21], v[86:87] scope:SCOPE_SYS
	s_branch .LBB2_498
.LBB2_678:                              ;   in Loop: Header=BB2_47 Depth=1
	s_or_b32 exec_lo, exec_lo, s27
.LBB2_679:                              ;   in Loop: Header=BB2_47 Depth=1
	s_delay_alu instid0(SALU_CYCLE_1) | instskip(NEXT) | instid1(SALU_CYCLE_1)
	s_or_b32 exec_lo, exec_lo, s18
	s_mov_b32 s14, exec_lo
	v_cmpx_gt_i32_e32 2, v2
	s_cbranch_execz .LBB2_755
; %bb.680:                              ;   in Loop: Header=BB2_47 Depth=1
	v_cmp_eq_u32_e64 s18, 0, v2
	s_mov_b32 s15, 0
	s_branch .LBB2_682
.LBB2_681:                              ;   in Loop: Header=BB2_682 Depth=2
	s_wait_xcnt 0x0
	s_or_b32 exec_lo, exec_lo, s13
	v_add_nc_u32_e32 v102, v100, v102
	s_mov_b32 s18, 0
	s_and_not1_b32 exec_lo, exec_lo, s15
	s_cbranch_execz .LBB2_754
.LBB2_682:                              ;   Parent Loop BB2_47 Depth=1
                                        ; =>  This Loop Header: Depth=2
                                        ;       Child Loop BB2_688 Depth 3
                                        ;       Child Loop BB2_716 Depth 3
	;; [unrolled: 1-line block ×3, first 2 shown]
	s_delay_alu instid0(VALU_DEP_1) | instskip(SKIP_2) | instid1(VALU_DEP_2)
	v_sub_nc_u32_e32 v2, v63, v102
	v_and_b32_e32 v8, 12, v30
	s_mov_b32 s27, exec_lo
	v_min_i32_e32 v100, v100, v2
	s_delay_alu instid0(VALU_DEP_2)
	v_cmpx_ne_u32_e32 0, v8
	s_cbranch_execz .LBB2_708
; %bb.683:                              ;   in Loop: Header=BB2_682 Depth=2
	v_and_b32_e32 v2, 8, v30
	v_add_nc_u64_e32 v[8:9], 2, v[86:87]
	s_mov_b32 s40, exec_lo
	s_wait_loadcnt_dscnt 0x1
	s_delay_alu instid0(VALU_DEP_2) | instskip(NEXT) | instid1(VALU_DEP_1)
	v_add_nc_u64_e32 v[10:11], v[28:29], v[2:3]
	v_cmpx_lt_u64_e64 v[10:11], v[8:9]
	s_cbranch_execz .LBB2_695
; %bb.684:                              ;   in Loop: Header=BB2_682 Depth=2
	v_and_b32_e32 v10, 64, v30
	s_mov_b32 s41, 0
	s_mov_b32 s63, 0
                                        ; implicit-def: $sgpr60
                                        ; implicit-def: $sgpr61
                                        ; implicit-def: $sgpr62
	s_delay_alu instid0(VALU_DEP_1)
	v_cmp_eq_u32_e32 vcc_lo, 0, v10
	s_branch .LBB2_688
.LBB2_685:                              ;   in Loop: Header=BB2_688 Depth=3
	s_wait_loadcnt_dscnt 0x0
	v_add_nc_u64_e32 v[112:113], v[28:29], v[2:3]
	s_or_b32 s74, s74, exec_lo
	s_delay_alu instid0(VALU_DEP_1)
	v_cmp_ge_u64_e64 s13, v[112:113], v[8:9]
	s_or_not1_b32 s73, s13, exec_lo
.LBB2_686:                              ;   in Loop: Header=BB2_688 Depth=3
	s_or_b32 exec_lo, exec_lo, s76
	s_delay_alu instid0(SALU_CYCLE_1)
	s_and_not1_b32 s13, s62, exec_lo
	s_and_b32 s62, s74, exec_lo
	s_and_not1_b32 s61, s61, exec_lo
	s_and_b32 s73, s73, exec_lo
	s_or_b32 s62, s13, s62
	s_or_b32 s61, s61, s73
.LBB2_687:                              ;   in Loop: Header=BB2_688 Depth=3
	s_or_b32 exec_lo, exec_lo, s72
	s_delay_alu instid0(SALU_CYCLE_1) | instskip(NEXT) | instid1(SALU_CYCLE_1)
	s_and_b32 s13, exec_lo, s61
	s_or_b32 s41, s13, s41
	s_and_not1_b32 s13, s60, exec_lo
	s_and_b32 s60, s62, exec_lo
	s_delay_alu instid0(SALU_CYCLE_1)
	s_or_b32 s60, s13, s60
	s_and_not1_b32 exec_lo, exec_lo, s41
	s_cbranch_execz .LBB2_692
.LBB2_688:                              ;   Parent Loop BB2_47 Depth=1
                                        ;     Parent Loop BB2_682 Depth=2
                                        ; =>    This Inner Loop Header: Depth=3
	s_sleep 1
	s_wait_loadcnt_dscnt 0x0
	flat_load_b64 v[28:29], v[20:21] scope:SCOPE_SYS
	s_or_b32 s62, s62, exec_lo
	s_or_b32 s61, s61, exec_lo
                                        ; implicit-def: $vgpr10
	s_wait_xcnt 0x0
	s_and_saveexec_b32 s72, vcc_lo
	s_cbranch_execz .LBB2_687
; %bb.689:                              ;   in Loop: Header=BB2_688 Depth=3
	s_cmp_lt_i32 s63, 0x270f
	s_mov_b32 s73, -1
	s_cselect_b32 s75, -1, 0
	s_cmp_gt_i32 s63, 0x270e
	s_cbranch_scc0 .LBB2_691
; %bb.690:                              ;   in Loop: Header=BB2_688 Depth=3
	s_trap 2
	ds_load_b64 v[10:11], v0
	s_and_not1_b32 s63, s75, exec_lo
	s_mov_b32 s74, 0
	s_wait_storecnt 0x0
	s_wait_loadcnt_dscnt 0x0
	flat_load_b32 v10, v[10:11] scope:SCOPE_SYS
	s_wait_loadcnt_dscnt 0x0
	global_inv scope:SCOPE_SYS
	v_cmp_eq_u32_e64 s13, 0, v10
	s_and_b32 s13, s13, exec_lo
	s_delay_alu instid0(SALU_CYCLE_1)
	s_or_b32 s75, s63, s13
	s_mov_b32 s63, 0
	s_and_saveexec_b32 s76, s75
	s_cbranch_execz .LBB2_686
	s_branch .LBB2_685
.LBB2_691:                              ;   in Loop: Header=BB2_688 Depth=3
	s_add_co_i32 s63, s63, 1
	s_mov_b32 s74, -1
                                        ; implicit-def: $vgpr10
	s_and_saveexec_b32 s76, s75
	s_cbranch_execz .LBB2_686
	s_branch .LBB2_685
.LBB2_692:                              ;   in Loop: Header=BB2_682 Depth=2
	s_or_b32 exec_lo, exec_lo, s41
	s_xor_b32 s13, s60, -1
	s_delay_alu instid0(SALU_CYCLE_1) | instskip(NEXT) | instid1(SALU_CYCLE_1)
	s_and_saveexec_b32 s41, s13
	s_xor_b32 s13, exec_lo, s41
	s_cbranch_execz .LBB2_694
; %bb.693:                              ;   in Loop: Header=BB2_682 Depth=2
	v_or_b32_e32 v30, 64, v30
	s_wait_storecnt 0x0
	s_wait_loadcnt_dscnt 0x0
	ds_store_b32 v0, v10
	s_trap 2
.LBB2_694:                              ;   in Loop: Header=BB2_682 Depth=2
	s_or_b32 exec_lo, exec_lo, s13
.LBB2_695:                              ;   in Loop: Header=BB2_682 Depth=2
	s_delay_alu instid0(SALU_CYCLE_1) | instskip(SKIP_2) | instid1(VALU_DEP_1)
	s_or_b32 exec_lo, exec_lo, s40
	v_and_b32_e32 v10, 0x108, v30
	;;#ASMSTART
	s_wakeup
	;;#ASMEND
	v_cmp_ne_u32_e32 vcc_lo, 0x108, v10
                                        ; implicit-def: $vgpr10_vgpr11
	s_and_saveexec_b32 s13, vcc_lo
	s_delay_alu instid0(SALU_CYCLE_1)
	s_xor_b32 s13, exec_lo, s13
; %bb.696:                              ;   in Loop: Header=BB2_682 Depth=2
	v_dual_mov_b32 v11, v3 :: v_dual_bitop2_b32 v10, 7, v86 bitop3:0x40
                                        ; implicit-def: $vgpr86_vgpr87
; %bb.697:                              ;   in Loop: Header=BB2_682 Depth=2
	s_and_not1_saveexec_b32 s13, s13
	s_cbranch_execz .LBB2_699
; %bb.698:                              ;   in Loop: Header=BB2_682 Depth=2
	v_dual_ashrrev_i32 v101, 31, v100 :: v_dual_bitop2_b32 v10, 7, v86 bitop3:0x40
	v_mov_b32_e32 v11, v3
	s_delay_alu instid0(VALU_DEP_2) | instskip(NEXT) | instid1(VALU_DEP_3)
	v_mad_nc_u64_u32 v[86:87], v10, 24, v[6:7]
	v_lshlrev_b64_e32 v[112:113], 2, v[100:101]
	flat_store_b64 v[86:87], v[112:113] offset:8
.LBB2_699:                              ;   in Loop: Header=BB2_682 Depth=2
	s_wait_xcnt 0x0
	s_or_b32 exec_lo, exec_lo, s13
	v_and_b32_e32 v86, 0x100, v30
	s_mov_b32 s13, -1
	s_delay_alu instid0(VALU_DEP_1)
	v_cmp_ne_u32_e32 vcc_lo, 0, v86
                                        ; implicit-def: $vgpr86_vgpr87
	s_and_saveexec_b32 s40, vcc_lo
	s_cbranch_execz .LBB2_703
; %bb.700:                              ;   in Loop: Header=BB2_682 Depth=2
	v_mad_nc_u64_u32 v[112:113], v10, 24, v[6:7]
	s_delay_alu instid0(VALU_DEP_1)
	v_mad_u32 v113, v11, 24, v113
	flat_load_b32 v86, v[112:113]
	s_wait_loadcnt_dscnt 0x0
	v_cmp_eq_u32_e64 s13, 1, v86
	v_cmp_ne_u32_e32 vcc_lo, 1, v86
                                        ; implicit-def: $vgpr86_vgpr87
	s_wait_xcnt 0x0
	s_and_saveexec_b32 s41, s13
	s_cbranch_execz .LBB2_702
; %bb.701:                              ;   in Loop: Header=BB2_682 Depth=2
	flat_load_b32 v86, v[112:113] offset:4 scope:SCOPE_SYS
	s_wait_loadcnt_dscnt 0x0
	v_ashrrev_i32_e32 v87, 31, v86
	s_delay_alu instid0(VALU_DEP_1)
	v_lshrrev_b64 v[86:87], 2, v[86:87]
.LBB2_702:                              ;   in Loop: Header=BB2_682 Depth=2
	s_wait_xcnt 0x0
	s_or_b32 exec_lo, exec_lo, s41
	s_delay_alu instid0(SALU_CYCLE_1)
	s_or_not1_b32 s13, vcc_lo, exec_lo
.LBB2_703:                              ;   in Loop: Header=BB2_682 Depth=2
	s_or_b32 exec_lo, exec_lo, s40
	s_and_saveexec_b32 s40, s13
; %bb.704:                              ;   in Loop: Header=BB2_682 Depth=2
	v_mul_u64_e32 v[86:87], v[10:11], v[22:23]
; %bb.705:                              ;   in Loop: Header=BB2_682 Depth=2
	s_or_b32 exec_lo, exec_lo, s40
	v_cmp_eq_u32_e32 vcc_lo, 0, v2
	v_and_b32_e32 v101, 0x2000, v30
	s_delay_alu instid0(VALU_DEP_3) | instskip(SKIP_2) | instid1(VALU_DEP_1)
	v_lshl_add_u64 v[10:11], v[86:87], 2, v[24:25]
	s_mov_b32 s13, exec_lo
	v_cndmask_b32_e32 v2, 0xd0, v58, vcc_lo
	v_add_nc_u32_e32 v2, v0, v2
	ds_store_b64 v2, v[10:11] offset:584
	v_cmpx_ne_u32_e32 0, v101
	s_cbranch_execz .LBB2_707
; %bb.706:                              ;   in Loop: Header=BB2_682 Depth=2
	ds_load_b64 v[10:11], v0 offset:872
	s_wait_dscnt 0x0
	v_add_nc_u64_e32 v[10:11], 1, v[10:11]
	ds_store_b64 v0, v[10:11] offset:872
.LBB2_707:                              ;   in Loop: Header=BB2_682 Depth=2
	s_or_b32 exec_lo, exec_lo, s13
	v_mov_b64_e32 v[86:87], v[8:9]
.LBB2_708:                              ;   in Loop: Header=BB2_682 Depth=2
	s_or_b32 exec_lo, exec_lo, s27
	s_xor_b32 s13, s18, -1
	s_delay_alu instid0(SALU_CYCLE_1) | instskip(NEXT) | instid1(SALU_CYCLE_1)
	s_and_b32 s13, exec_lo, s13
	s_or_b32 s15, s13, s15
	s_and_saveexec_b32 s13, s2
	s_cbranch_execz .LBB2_727
; %bb.709:                              ;   in Loop: Header=BB2_682 Depth=2
	s_and_saveexec_b32 s18, s3
	s_delay_alu instid0(SALU_CYCLE_1)
	s_xor_b32 s18, exec_lo, s18
	s_cbranch_execz .LBB2_724
; %bb.710:                              ;   in Loop: Header=BB2_682 Depth=2
	s_and_saveexec_b32 s27, s6
	s_cbranch_execz .LBB2_723
; %bb.711:                              ;   in Loop: Header=BB2_682 Depth=2
	s_mov_b32 s41, exec_lo
	s_mov_b32 s40, exec_lo
	v_mbcnt_lo_u32_b32 v2, s41, 0
	global_wb scope:SCOPE_DEV
	s_wait_storecnt 0x0
	s_wait_loadcnt_dscnt 0x0
	global_inv scope:SCOPE_DEV
	v_cmpx_eq_u32_e32 0, v2
	s_cbranch_execz .LBB2_713
; %bb.712:                              ;   in Loop: Header=BB2_682 Depth=2
	s_bcnt1_i32_b32 s41, s41
	s_delay_alu instid0(SALU_CYCLE_1)
	v_mov_b32_e32 v2, s41
	s_wait_loadcnt 0x0
	ds_add_u64 v0, v[2:3]
	s_trap 2
.LBB2_713:                              ;   in Loop: Header=BB2_682 Depth=2
	s_or_b32 exec_lo, exec_lo, s40
	s_trap 2
	ds_load_b64 v[8:9], v0
	s_wait_dscnt 0x0
	v_add_nc_u64_e32 v[12:13], v[12:13], v[32:33]
	s_mov_b32 s40, exec_lo
	s_delay_alu instid0(VALU_DEP_1)
	v_cmpx_lt_u64_e64 v[8:9], v[12:13]
	s_cbranch_execz .LBB2_722
; %bb.714:                              ;   in Loop: Header=BB2_682 Depth=2
	s_mov_b32 s41, 0
	s_mov_b32 s62, 0
                                        ; implicit-def: $sgpr60
                                        ; implicit-def: $sgpr61
	s_branch .LBB2_716
.LBB2_715:                              ;   in Loop: Header=BB2_716 Depth=3
	s_or_b32 exec_lo, exec_lo, s72
	s_delay_alu instid0(SALU_CYCLE_1) | instskip(NEXT) | instid1(SALU_CYCLE_1)
	s_and_b32 s63, exec_lo, s73
	s_or_b32 s41, s63, s41
	s_and_not1_b32 s60, s60, exec_lo
	s_and_b32 s63, s61, exec_lo
	s_delay_alu instid0(SALU_CYCLE_1)
	s_or_b32 s60, s60, s63
	s_and_not1_b32 exec_lo, exec_lo, s41
	s_cbranch_execz .LBB2_720
.LBB2_716:                              ;   Parent Loop BB2_47 Depth=1
                                        ;     Parent Loop BB2_682 Depth=2
                                        ; =>    This Inner Loop Header: Depth=3
	s_add_co_i32 s62, s62, 1
	s_delay_alu instid0(SALU_CYCLE_1) | instskip(SKIP_1) | instid1(SALU_CYCLE_1)
	s_cmp_lg_u32 s62, 0x2710
	s_cselect_b32 s63, -1, 0
	s_and_b32 vcc_lo, exec_lo, s63
	s_cbranch_vccz .LBB2_718
; %bb.717:                              ;   in Loop: Header=BB2_716 Depth=3
	s_mov_b32 s73, -1
	s_or_b32 s61, s61, exec_lo
	s_and_saveexec_b32 s72, s63
	s_cbranch_execz .LBB2_715
	s_branch .LBB2_719
.LBB2_718:                              ;   in Loop: Header=BB2_716 Depth=3
	s_trap 2
	ds_load_b64 v[8:9], v0
	s_and_not1_b32 s63, s63, exec_lo
	s_mov_b32 s62, 0
	s_wait_loadcnt_dscnt 0x0
	flat_load_b32 v2, v[8:9] scope:SCOPE_SYS
	s_wait_loadcnt_dscnt 0x0
	global_inv scope:SCOPE_SYS
	v_cmp_eq_u32_e32 vcc_lo, 0, v2
	s_and_b32 s72, vcc_lo, exec_lo
	s_delay_alu instid0(SALU_CYCLE_1)
	s_or_b32 s63, s63, s72
	s_mov_b32 s73, -1
	s_or_b32 s61, s61, exec_lo
	s_and_saveexec_b32 s72, s63
	s_cbranch_execz .LBB2_715
.LBB2_719:                              ;   in Loop: Header=BB2_716 Depth=3
	s_sleep 1
	s_trap 2
	ds_load_b64 v[8:9], v0
	s_wait_dscnt 0x0
	s_and_not1_b32 s61, s61, exec_lo
	v_cmp_ge_u64_e32 vcc_lo, v[8:9], v[12:13]
	s_or_not1_b32 s73, vcc_lo, exec_lo
	s_branch .LBB2_715
.LBB2_720:                              ;   in Loop: Header=BB2_682 Depth=2
	s_or_b32 exec_lo, exec_lo, s41
	s_and_saveexec_b32 s41, s60
	s_delay_alu instid0(SALU_CYCLE_1)
	s_xor_b32 s41, exec_lo, s41
	s_cbranch_execz .LBB2_722
; %bb.721:                              ;   in Loop: Header=BB2_682 Depth=2
	ds_store_b32 v0, v57
	s_trap 2
.LBB2_722:                              ;   in Loop: Header=BB2_682 Depth=2
	s_or_b32 exec_lo, exec_lo, s40
	;;#ASMSTART
	s_wakeup
	;;#ASMEND
.LBB2_723:                              ;   in Loop: Header=BB2_682 Depth=2
	s_or_b32 exec_lo, exec_lo, s27
.LBB2_724:                              ;   in Loop: Header=BB2_682 Depth=2
	s_and_not1_saveexec_b32 s18, s18
	s_cbranch_execz .LBB2_726
; %bb.725:                              ;   in Loop: Header=BB2_682 Depth=2
	global_wb scope:SCOPE_DEV
	s_wait_storecnt 0x0
	s_wait_loadcnt_dscnt 0x0
	global_inv scope:SCOPE_DEV
	s_barrier_signal -1
	s_barrier_wait -1
.LBB2_726:                              ;   in Loop: Header=BB2_682 Depth=2
	s_or_b32 exec_lo, exec_lo, s18
.LBB2_727:                              ;   in Loop: Header=BB2_682 Depth=2
	s_delay_alu instid0(SALU_CYCLE_1) | instskip(SKIP_2) | instid1(SALU_CYCLE_1)
	s_or_b32 exec_lo, exec_lo, s13
	v_and_b32_e32 v8, 16, v30
	s_and_saveexec_b32 s13, s7
	s_xor_b32 s18, exec_lo, s13
	s_cbranch_execz .LBB2_731
; %bb.728:                              ;   in Loop: Header=BB2_682 Depth=2
	s_trap 2
	ds_load_b32 v2, v0
	v_cmp_lt_i32_e32 vcc_lo, 0, v100
	v_and_b32_e32 v8, 16, v30
	s_wait_dscnt 0x0
	v_readfirstlane_b32 s13, v2
	v_and_b32_e32 v2, 16, v30
	s_cmp_eq_u32 s13, 0
	s_delay_alu instid0(VALU_DEP_1) | instskip(SKIP_1) | instid1(SALU_CYCLE_1)
	v_cmp_ne_u32_e64 s13, 0, v2
	s_cselect_b32 s27, -1, 0
	s_and_b32 s27, vcc_lo, s27
	s_delay_alu instid0(SALU_CYCLE_1) | instskip(NEXT) | instid1(SALU_CYCLE_1)
	s_and_b32 s27, s13, s27
	s_and_saveexec_b32 s13, s27
	s_cbranch_execz .LBB2_730
; %bb.729:                              ;   in Loop: Header=BB2_682 Depth=2
	v_mov_b32_e32 v8, 1
	global_wb scope:SCOPE_SYS
	s_wait_loadcnt 0x0
	s_wait_storecnt 0x0
	global_inv scope:SCOPE_SYS
.LBB2_730:                              ;   in Loop: Header=BB2_682 Depth=2
	s_or_b32 exec_lo, exec_lo, s13
.LBB2_731:                              ;   in Loop: Header=BB2_682 Depth=2
	s_and_not1_saveexec_b32 s13, s18
	s_cbranch_execz .LBB2_750
; %bb.732:                              ;   in Loop: Header=BB2_682 Depth=2
	s_and_saveexec_b32 s18, s3
	s_delay_alu instid0(SALU_CYCLE_1)
	s_xor_b32 s18, exec_lo, s18
	s_cbranch_execz .LBB2_747
; %bb.733:                              ;   in Loop: Header=BB2_682 Depth=2
	s_and_saveexec_b32 s27, s6
	s_cbranch_execz .LBB2_746
; %bb.734:                              ;   in Loop: Header=BB2_682 Depth=2
	s_mov_b32 s41, exec_lo
	s_mov_b32 s40, exec_lo
	v_mbcnt_lo_u32_b32 v2, s41, 0
	;;#ASMSTART
	s_waitcnt lgkmcnt(0) vmcnt(0)
	;;#ASMEND
	s_delay_alu instid0(VALU_DEP_1)
	v_cmpx_eq_u32_e32 0, v2
	s_cbranch_execz .LBB2_736
; %bb.735:                              ;   in Loop: Header=BB2_682 Depth=2
	s_bcnt1_i32_b32 s41, s41
	s_delay_alu instid0(SALU_CYCLE_1)
	v_mov_b32_e32 v2, s41
	s_wait_storecnt 0x0
	s_wait_loadcnt_dscnt 0x0
	ds_add_u64 v0, v[2:3]
	s_trap 2
.LBB2_736:                              ;   in Loop: Header=BB2_682 Depth=2
	s_or_b32 exec_lo, exec_lo, s40
	s_trap 2
	ds_load_b64 v[10:11], v0
	s_wait_dscnt 0x0
	v_add_nc_u64_e32 v[12:13], v[12:13], v[32:33]
	s_mov_b32 s40, exec_lo
	s_delay_alu instid0(VALU_DEP_1)
	v_cmpx_lt_u64_e64 v[10:11], v[12:13]
	s_cbranch_execz .LBB2_745
; %bb.737:                              ;   in Loop: Header=BB2_682 Depth=2
	s_mov_b32 s41, 0
	s_mov_b32 s62, 0
                                        ; implicit-def: $sgpr60
                                        ; implicit-def: $sgpr61
	s_branch .LBB2_739
.LBB2_738:                              ;   in Loop: Header=BB2_739 Depth=3
	s_or_b32 exec_lo, exec_lo, s72
	s_delay_alu instid0(SALU_CYCLE_1) | instskip(NEXT) | instid1(SALU_CYCLE_1)
	s_and_b32 s63, exec_lo, s73
	s_or_b32 s41, s63, s41
	s_and_not1_b32 s60, s60, exec_lo
	s_and_b32 s63, s61, exec_lo
	s_delay_alu instid0(SALU_CYCLE_1)
	s_or_b32 s60, s60, s63
	s_and_not1_b32 exec_lo, exec_lo, s41
	s_cbranch_execz .LBB2_743
.LBB2_739:                              ;   Parent Loop BB2_47 Depth=1
                                        ;     Parent Loop BB2_682 Depth=2
                                        ; =>    This Inner Loop Header: Depth=3
	s_add_co_i32 s62, s62, 1
	s_delay_alu instid0(SALU_CYCLE_1) | instskip(SKIP_1) | instid1(SALU_CYCLE_1)
	s_cmp_lg_u32 s62, 0x2710
	s_cselect_b32 s63, -1, 0
	s_and_b32 vcc_lo, exec_lo, s63
	s_cbranch_vccz .LBB2_741
; %bb.740:                              ;   in Loop: Header=BB2_739 Depth=3
	s_mov_b32 s73, -1
	s_or_b32 s61, s61, exec_lo
	s_and_saveexec_b32 s72, s63
	s_cbranch_execz .LBB2_738
	s_branch .LBB2_742
.LBB2_741:                              ;   in Loop: Header=BB2_739 Depth=3
	s_trap 2
	ds_load_b64 v[10:11], v0
	s_and_not1_b32 s63, s63, exec_lo
	s_mov_b32 s62, 0
	s_wait_storecnt 0x0
	s_wait_loadcnt_dscnt 0x0
	flat_load_b32 v2, v[10:11] scope:SCOPE_SYS
	s_wait_loadcnt_dscnt 0x0
	global_inv scope:SCOPE_SYS
	v_cmp_eq_u32_e32 vcc_lo, 0, v2
	s_and_b32 s72, vcc_lo, exec_lo
	s_delay_alu instid0(SALU_CYCLE_1)
	s_or_b32 s63, s63, s72
	s_mov_b32 s73, -1
	s_or_b32 s61, s61, exec_lo
	s_and_saveexec_b32 s72, s63
	s_cbranch_execz .LBB2_738
.LBB2_742:                              ;   in Loop: Header=BB2_739 Depth=3
	s_sleep 1
	s_trap 2
	ds_load_b64 v[10:11], v0
	s_wait_dscnt 0x0
	s_and_not1_b32 s61, s61, exec_lo
	v_cmp_ge_u64_e32 vcc_lo, v[10:11], v[12:13]
	s_or_not1_b32 s73, vcc_lo, exec_lo
	s_branch .LBB2_738
.LBB2_743:                              ;   in Loop: Header=BB2_682 Depth=2
	s_or_b32 exec_lo, exec_lo, s41
	s_and_saveexec_b32 s41, s60
	s_delay_alu instid0(SALU_CYCLE_1)
	s_xor_b32 s41, exec_lo, s41
	s_cbranch_execz .LBB2_745
; %bb.744:                              ;   in Loop: Header=BB2_682 Depth=2
	ds_store_b32 v0, v57
	s_trap 2
.LBB2_745:                              ;   in Loop: Header=BB2_682 Depth=2
	s_or_b32 exec_lo, exec_lo, s40
	;;#ASMSTART
	s_wakeup
	;;#ASMEND
.LBB2_746:                              ;   in Loop: Header=BB2_682 Depth=2
	s_or_b32 exec_lo, exec_lo, s27
.LBB2_747:                              ;   in Loop: Header=BB2_682 Depth=2
	s_and_not1_saveexec_b32 s18, s18
	s_cbranch_execz .LBB2_749
; %bb.748:                              ;   in Loop: Header=BB2_682 Depth=2
	;;#ASMSTART
	s_waitcnt lgkmcnt(0) vmcnt(0)
	;;#ASMEND
	s_barrier_signal -1
	s_barrier_wait -1
.LBB2_749:                              ;   in Loop: Header=BB2_682 Depth=2
	s_or_b32 exec_lo, exec_lo, s18
.LBB2_750:                              ;   in Loop: Header=BB2_682 Depth=2
	s_delay_alu instid0(SALU_CYCLE_1) | instskip(SKIP_2) | instid1(SALU_CYCLE_1)
	s_or_b32 exec_lo, exec_lo, s13
	v_cmp_ne_u32_e32 vcc_lo, 0, v8
	s_xor_b32 s13, s4, -1
	s_and_b32 s18, vcc_lo, s13
	s_delay_alu instid0(SALU_CYCLE_1)
	s_and_saveexec_b32 s13, s18
	s_cbranch_execz .LBB2_752
; %bb.751:                              ;   in Loop: Header=BB2_682 Depth=2
	global_wb scope:SCOPE_SYS
	s_wait_storecnt 0x0
	s_wait_loadcnt_dscnt 0x0
	flat_store_b32 v[26:27], v57 scope:SCOPE_SYS
.LBB2_752:                              ;   in Loop: Header=BB2_682 Depth=2
	s_wait_xcnt 0x0
	s_or_b32 exec_lo, exec_lo, s13
	v_and_b32_e32 v2, 48, v30
	s_mov_b32 s13, exec_lo
	s_delay_alu instid0(VALU_DEP_1)
	v_cmpx_ne_u32_e32 0, v2
	s_cbranch_execz .LBB2_681
; %bb.753:                              ;   in Loop: Header=BB2_682 Depth=2
	v_add_nc_u64_e32 v[86:87], 2, v[86:87]
	global_wb scope:SCOPE_SYS
	s_wait_storecnt 0x0
	s_wait_loadcnt_dscnt 0x0
	flat_store_b64 v[20:21], v[86:87] scope:SCOPE_SYS
	s_branch .LBB2_681
.LBB2_754:                              ;   in Loop: Header=BB2_47 Depth=1
	s_or_b32 exec_lo, exec_lo, s15
.LBB2_755:                              ;   in Loop: Header=BB2_47 Depth=1
	s_delay_alu instid0(SALU_CYCLE_1) | instskip(NEXT) | instid1(SALU_CYCLE_1)
	s_or_b32 exec_lo, exec_lo, s14
	s_and_not1_b32 vcc_lo, exec_lo, s46
	s_cbranch_vccnz .LBB2_1018
; %bb.756:                              ;   in Loop: Header=BB2_47 Depth=1
	s_mov_b32 s18, 1
.LBB2_757:                              ;   Parent Loop BB2_47 Depth=1
                                        ; =>  This Loop Header: Depth=2
                                        ;       Child Loop BB2_760 Depth 3
                                        ;         Child Loop BB2_768 Depth 4
                                        ;         Child Loop BB2_796 Depth 4
	;; [unrolled: 1-line block ×4, first 2 shown]
                                        ;           Child Loop BB2_839 Depth 5
                                        ;         Child Loop BB2_845 Depth 4
                                        ;           Child Loop BB2_846 Depth 5
                                        ;         Child Loop BB2_855 Depth 4
                                        ;         Child Loop BB2_860 Depth 4
                                        ;           Child Loop BB2_861 Depth 5
                                        ;         Child Loop BB2_873 Depth 4
                                        ;         Child Loop BB2_878 Depth 4
	;; [unrolled: 1-line block ×6, first 2 shown]
                                        ;       Child Loop BB2_943 Depth 3
                                        ;         Child Loop BB2_949 Depth 4
                                        ;         Child Loop BB2_977 Depth 4
                                        ;         Child Loop BB2_1000 Depth 4
	s_delay_alu instid0(SALU_CYCLE_1) | instskip(SKIP_4) | instid1(SALU_CYCLE_1)
	s_sub_co_i32 s13, s44, s18
	s_mov_b32 s60, 0
	s_cmp_ge_i32 s13, s16
	v_mov_b32_e32 v102, 0
	s_cselect_b32 s14, s16, 0
	s_sub_co_i32 s14, s13, s14
	s_delay_alu instid0(SALU_CYCLE_1) | instskip(NEXT) | instid1(SALU_CYCLE_1)
	s_ashr_i32 s15, s14, 31
	v_mul_u64_e32 v[8:9], s[14:15], v[84:85]
	s_delay_alu instid0(VALU_DEP_1) | instskip(NEXT) | instid1(VALU_DEP_1)
	v_sub_nc_u64_e32 v[10:11], v[96:97], v[8:9]
	v_min_i64 v[10:11], v[84:85], v[10:11]
	s_delay_alu instid0(VALU_DEP_1) | instskip(SKIP_1) | instid1(VALU_DEP_2)
	v_max_i32_e32 v46, 0, v10
	v_cmp_lt_i32_e32 vcc_lo, 0, v10
	v_add_nc_u32_e32 v2, 31, v46
	s_and_b32 s13, s57, vcc_lo
	s_delay_alu instid0(VALU_DEP_1) | instskip(NEXT) | instid1(VALU_DEP_1)
	v_lshrrev_b32_e32 v2, 1, v2
	v_and_b32_e32 v11, 0x3ffffff0, v2
	s_delay_alu instid0(VALU_DEP_1)
	v_dual_mov_b32 v2, 0 :: v_dual_max_i32 v100, s45, v11
	s_and_saveexec_b32 s27, s13
	s_cbranch_execz .LBB2_940
; %bb.758:                              ;   in Loop: Header=BB2_757 Depth=2
	v_add_nc_u64_e32 v[8:9], v[8:9], v[98:99]
	v_mov_b32_e32 v102, 0
	s_mov_b32 s62, 1
	s_mov_b32 s61, -1
	s_delay_alu instid0(VALU_DEP_2)
	v_lshlrev_b64_e32 v[112:113], 2, v[8:9]
	s_branch .LBB2_760
.LBB2_759:                              ;   in Loop: Header=BB2_760 Depth=3
	s_wait_xcnt 0x0
	s_or_b32 exec_lo, exec_lo, s13
	v_dual_add_nc_u32 v102, v100, v102 :: v_dual_mov_b32 v2, s62
	s_xor_b32 s13, s61, -1
	s_mov_b32 s61, 0
	s_mov_b32 s62, 2
	s_delay_alu instid0(VALU_DEP_1) | instskip(SKIP_1) | instid1(SALU_CYCLE_1)
	v_cmp_ge_i32_e32 vcc_lo, v102, v46
	s_or_b32 s13, s13, vcc_lo
	s_and_b32 s13, exec_lo, s13
	s_delay_alu instid0(SALU_CYCLE_1) | instskip(NEXT) | instid1(SALU_CYCLE_1)
	s_or_b32 s60, s13, s60
	s_and_not1_b32 exec_lo, exec_lo, s60
	s_cbranch_execz .LBB2_939
.LBB2_760:                              ;   Parent Loop BB2_47 Depth=1
                                        ;     Parent Loop BB2_757 Depth=2
                                        ; =>    This Loop Header: Depth=3
                                        ;         Child Loop BB2_768 Depth 4
                                        ;         Child Loop BB2_796 Depth 4
	;; [unrolled: 1-line block ×4, first 2 shown]
                                        ;           Child Loop BB2_839 Depth 5
                                        ;         Child Loop BB2_845 Depth 4
                                        ;           Child Loop BB2_846 Depth 5
                                        ;         Child Loop BB2_855 Depth 4
                                        ;         Child Loop BB2_860 Depth 4
                                        ;           Child Loop BB2_861 Depth 5
                                        ;         Child Loop BB2_873 Depth 4
                                        ;         Child Loop BB2_878 Depth 4
	;; [unrolled: 1-line block ×6, first 2 shown]
	s_and_saveexec_b32 s13, s0
	s_cbranch_execz .LBB2_762
; %bb.761:                              ;   in Loop: Header=BB2_760 Depth=3
	s_trap 2
	ds_load_b128 v[8:11], v0
	s_wait_dscnt 0x0
	v_cmp_ne_u64_e32 vcc_lo, 0, v[10:11]
	v_ashrrev_i32_e32 v103, 31, v102
	v_add_nc_u64_e32 v[116:117], v[10:11], v[112:113]
	v_add_nc_u64_e32 v[8:9], v[8:9], v[112:113]
	s_delay_alu instid0(VALU_DEP_3) | instskip(NEXT) | instid1(VALU_DEP_1)
	v_lshlrev_b64_e32 v[114:115], 2, v[102:103]
	v_add_nc_u64_e32 v[116:117], v[116:117], v[114:115]
	s_delay_alu instid0(VALU_DEP_3) | instskip(NEXT) | instid1(VALU_DEP_2)
	v_add_nc_u64_e32 v[8:9], v[8:9], v[114:115]
	v_dual_cndmask_b32 v11, 0, v117 :: v_dual_cndmask_b32 v10, 0, v116
	ds_store_b64 v0, v[8:9]
	ds_store_b64 v0, v[10:11]
.LBB2_762:                              ;   in Loop: Header=BB2_760 Depth=3
	s_or_b32 exec_lo, exec_lo, s13
	v_sub_nc_u32_e32 v2, v46, v102
	v_and_b32_e32 v8, 12, v30
	s_mov_b32 s14, exec_lo
	s_delay_alu instid0(VALU_DEP_2) | instskip(NEXT) | instid1(VALU_DEP_2)
	v_min_i32_e32 v100, v100, v2
	v_cmpx_ne_u32_e32 0, v8
	s_cbranch_execz .LBB2_788
; %bb.763:                              ;   in Loop: Header=BB2_760 Depth=3
	v_and_b32_e32 v2, 8, v30
	v_add_nc_u64_e32 v[8:9], 2, v[86:87]
	s_mov_b32 s15, exec_lo
	s_wait_loadcnt_dscnt 0x1
	s_delay_alu instid0(VALU_DEP_2) | instskip(NEXT) | instid1(VALU_DEP_1)
	v_add_nc_u64_e32 v[10:11], v[28:29], v[2:3]
	v_cmpx_lt_u64_e64 v[10:11], v[8:9]
	s_cbranch_execz .LBB2_775
; %bb.764:                              ;   in Loop: Header=BB2_760 Depth=3
	v_and_b32_e32 v10, 64, v30
	s_mov_b32 s40, 0
	s_mov_b32 s73, 0
                                        ; implicit-def: $sgpr41
                                        ; implicit-def: $sgpr63
                                        ; implicit-def: $sgpr72
	s_delay_alu instid0(VALU_DEP_1)
	v_cmp_eq_u32_e32 vcc_lo, 0, v10
	s_branch .LBB2_768
.LBB2_765:                              ;   in Loop: Header=BB2_768 Depth=4
	s_wait_loadcnt_dscnt 0x0
	v_add_nc_u64_e32 v[114:115], v[28:29], v[2:3]
	s_or_b32 s76, s76, exec_lo
	s_delay_alu instid0(VALU_DEP_1)
	v_cmp_ge_u64_e64 s13, v[114:115], v[8:9]
	s_or_not1_b32 s75, s13, exec_lo
.LBB2_766:                              ;   in Loop: Header=BB2_768 Depth=4
	s_or_b32 exec_lo, exec_lo, s78
	s_delay_alu instid0(SALU_CYCLE_1)
	s_and_not1_b32 s13, s72, exec_lo
	s_and_b32 s72, s76, exec_lo
	s_and_not1_b32 s63, s63, exec_lo
	s_and_b32 s75, s75, exec_lo
	s_or_b32 s72, s13, s72
	s_or_b32 s63, s63, s75
.LBB2_767:                              ;   in Loop: Header=BB2_768 Depth=4
	s_or_b32 exec_lo, exec_lo, s74
	s_delay_alu instid0(SALU_CYCLE_1) | instskip(NEXT) | instid1(SALU_CYCLE_1)
	s_and_b32 s13, exec_lo, s63
	s_or_b32 s40, s13, s40
	s_and_not1_b32 s13, s41, exec_lo
	s_and_b32 s41, s72, exec_lo
	s_delay_alu instid0(SALU_CYCLE_1)
	s_or_b32 s41, s13, s41
	s_and_not1_b32 exec_lo, exec_lo, s40
	s_cbranch_execz .LBB2_772
.LBB2_768:                              ;   Parent Loop BB2_47 Depth=1
                                        ;     Parent Loop BB2_757 Depth=2
                                        ;       Parent Loop BB2_760 Depth=3
                                        ; =>      This Inner Loop Header: Depth=4
	s_sleep 1
	s_wait_loadcnt_dscnt 0x0
	flat_load_b64 v[28:29], v[20:21] scope:SCOPE_SYS
	s_or_b32 s72, s72, exec_lo
	s_or_b32 s63, s63, exec_lo
                                        ; implicit-def: $vgpr10
	s_wait_xcnt 0x0
	s_and_saveexec_b32 s74, vcc_lo
	s_cbranch_execz .LBB2_767
; %bb.769:                              ;   in Loop: Header=BB2_768 Depth=4
	s_cmp_lt_i32 s73, 0x270f
	s_mov_b32 s75, -1
	s_cselect_b32 s77, -1, 0
	s_cmp_gt_i32 s73, 0x270e
	s_cbranch_scc0 .LBB2_771
; %bb.770:                              ;   in Loop: Header=BB2_768 Depth=4
	s_trap 2
	ds_load_b64 v[10:11], v0
	s_and_not1_b32 s73, s77, exec_lo
	s_mov_b32 s76, 0
	s_wait_storecnt 0x0
	s_wait_loadcnt_dscnt 0x0
	flat_load_b32 v10, v[10:11] scope:SCOPE_SYS
	s_wait_loadcnt_dscnt 0x0
	global_inv scope:SCOPE_SYS
	v_cmp_eq_u32_e64 s13, 0, v10
	s_and_b32 s13, s13, exec_lo
	s_delay_alu instid0(SALU_CYCLE_1)
	s_or_b32 s77, s73, s13
	s_mov_b32 s73, 0
	s_and_saveexec_b32 s78, s77
	s_cbranch_execz .LBB2_766
	s_branch .LBB2_765
.LBB2_771:                              ;   in Loop: Header=BB2_768 Depth=4
	s_add_co_i32 s73, s73, 1
	s_mov_b32 s76, -1
                                        ; implicit-def: $vgpr10
	s_and_saveexec_b32 s78, s77
	s_cbranch_execz .LBB2_766
	s_branch .LBB2_765
.LBB2_772:                              ;   in Loop: Header=BB2_760 Depth=3
	s_or_b32 exec_lo, exec_lo, s40
	s_xor_b32 s13, s41, -1
	s_delay_alu instid0(SALU_CYCLE_1) | instskip(NEXT) | instid1(SALU_CYCLE_1)
	s_and_saveexec_b32 s40, s13
	s_xor_b32 s13, exec_lo, s40
	s_cbranch_execz .LBB2_774
; %bb.773:                              ;   in Loop: Header=BB2_760 Depth=3
	v_or_b32_e32 v30, 64, v30
	s_wait_storecnt 0x0
	s_wait_loadcnt_dscnt 0x0
	ds_store_b32 v0, v10
	s_trap 2
.LBB2_774:                              ;   in Loop: Header=BB2_760 Depth=3
	s_or_b32 exec_lo, exec_lo, s13
.LBB2_775:                              ;   in Loop: Header=BB2_760 Depth=3
	s_delay_alu instid0(SALU_CYCLE_1) | instskip(SKIP_2) | instid1(VALU_DEP_1)
	s_or_b32 exec_lo, exec_lo, s15
	v_and_b32_e32 v10, 0x108, v30
	;;#ASMSTART
	s_wakeup
	;;#ASMEND
	v_cmp_ne_u32_e32 vcc_lo, 0x108, v10
                                        ; implicit-def: $vgpr10_vgpr11
	s_and_saveexec_b32 s13, vcc_lo
	s_delay_alu instid0(SALU_CYCLE_1)
	s_xor_b32 s13, exec_lo, s13
; %bb.776:                              ;   in Loop: Header=BB2_760 Depth=3
	v_dual_mov_b32 v11, v3 :: v_dual_bitop2_b32 v10, 7, v86 bitop3:0x40
                                        ; implicit-def: $vgpr86_vgpr87
; %bb.777:                              ;   in Loop: Header=BB2_760 Depth=3
	s_and_not1_saveexec_b32 s13, s13
	s_cbranch_execz .LBB2_779
; %bb.778:                              ;   in Loop: Header=BB2_760 Depth=3
	v_dual_ashrrev_i32 v101, 31, v100 :: v_dual_bitop2_b32 v10, 7, v86 bitop3:0x40
	v_mov_b32_e32 v11, v3
	s_delay_alu instid0(VALU_DEP_2) | instskip(NEXT) | instid1(VALU_DEP_3)
	v_mad_nc_u64_u32 v[86:87], v10, 24, v[6:7]
	v_lshlrev_b64_e32 v[114:115], 2, v[100:101]
	flat_store_b64 v[86:87], v[114:115] offset:8
.LBB2_779:                              ;   in Loop: Header=BB2_760 Depth=3
	s_wait_xcnt 0x0
	s_or_b32 exec_lo, exec_lo, s13
	v_and_b32_e32 v86, 0x100, v30
	s_mov_b32 s13, -1
	s_delay_alu instid0(VALU_DEP_1)
	v_cmp_ne_u32_e32 vcc_lo, 0, v86
                                        ; implicit-def: $vgpr86_vgpr87
	s_and_saveexec_b32 s15, vcc_lo
	s_cbranch_execz .LBB2_783
; %bb.780:                              ;   in Loop: Header=BB2_760 Depth=3
	v_mad_nc_u64_u32 v[114:115], v10, 24, v[6:7]
	s_delay_alu instid0(VALU_DEP_1)
	v_mad_u32 v115, v11, 24, v115
	flat_load_b32 v86, v[114:115]
	s_wait_loadcnt_dscnt 0x0
	v_cmp_eq_u32_e64 s13, 1, v86
	v_cmp_ne_u32_e32 vcc_lo, 1, v86
                                        ; implicit-def: $vgpr86_vgpr87
	s_wait_xcnt 0x0
	s_and_saveexec_b32 s40, s13
	s_cbranch_execz .LBB2_782
; %bb.781:                              ;   in Loop: Header=BB2_760 Depth=3
	flat_load_b32 v86, v[114:115] offset:4 scope:SCOPE_SYS
	s_wait_loadcnt_dscnt 0x0
	v_ashrrev_i32_e32 v87, 31, v86
	s_delay_alu instid0(VALU_DEP_1)
	v_lshrrev_b64 v[86:87], 2, v[86:87]
.LBB2_782:                              ;   in Loop: Header=BB2_760 Depth=3
	s_wait_xcnt 0x0
	s_or_b32 exec_lo, exec_lo, s40
	s_delay_alu instid0(SALU_CYCLE_1)
	s_or_not1_b32 s13, vcc_lo, exec_lo
.LBB2_783:                              ;   in Loop: Header=BB2_760 Depth=3
	s_or_b32 exec_lo, exec_lo, s15
	s_and_saveexec_b32 s15, s13
; %bb.784:                              ;   in Loop: Header=BB2_760 Depth=3
	v_mul_u64_e32 v[86:87], v[10:11], v[22:23]
; %bb.785:                              ;   in Loop: Header=BB2_760 Depth=3
	s_or_b32 exec_lo, exec_lo, s15
	v_cmp_eq_u32_e32 vcc_lo, 0, v2
	v_and_b32_e32 v101, 0x2000, v30
	s_delay_alu instid0(VALU_DEP_3) | instskip(SKIP_2) | instid1(VALU_DEP_1)
	v_lshl_add_u64 v[10:11], v[86:87], 2, v[24:25]
	s_mov_b32 s13, exec_lo
	v_cndmask_b32_e32 v2, 0xd0, v59, vcc_lo
	v_add_nc_u32_e32 v2, v0, v2
	ds_store_b64 v2, v[10:11] offset:584
	v_cmpx_ne_u32_e32 0, v101
	s_cbranch_execz .LBB2_787
; %bb.786:                              ;   in Loop: Header=BB2_760 Depth=3
	ds_load_b64 v[10:11], v0 offset:872
	s_wait_dscnt 0x0
	v_add_nc_u64_e32 v[10:11], 1, v[10:11]
	ds_store_b64 v0, v[10:11] offset:872
.LBB2_787:                              ;   in Loop: Header=BB2_760 Depth=3
	s_or_b32 exec_lo, exec_lo, s13
	v_mov_b64_e32 v[86:87], v[8:9]
.LBB2_788:                              ;   in Loop: Header=BB2_760 Depth=3
	s_or_b32 exec_lo, exec_lo, s14
	s_and_saveexec_b32 s13, s2
	s_cbranch_execz .LBB2_807
; %bb.789:                              ;   in Loop: Header=BB2_760 Depth=3
	s_and_saveexec_b32 s14, s3
	s_delay_alu instid0(SALU_CYCLE_1)
	s_xor_b32 s14, exec_lo, s14
	s_cbranch_execz .LBB2_804
; %bb.790:                              ;   in Loop: Header=BB2_760 Depth=3
	s_and_saveexec_b32 s15, s6
	s_cbranch_execz .LBB2_803
; %bb.791:                              ;   in Loop: Header=BB2_760 Depth=3
	s_mov_b32 s41, exec_lo
	s_mov_b32 s40, exec_lo
	v_mbcnt_lo_u32_b32 v2, s41, 0
	global_wb scope:SCOPE_DEV
	s_wait_storecnt 0x0
	s_wait_loadcnt_dscnt 0x0
	global_inv scope:SCOPE_DEV
	v_cmpx_eq_u32_e32 0, v2
	s_cbranch_execz .LBB2_793
; %bb.792:                              ;   in Loop: Header=BB2_760 Depth=3
	s_bcnt1_i32_b32 s41, s41
	s_delay_alu instid0(SALU_CYCLE_1)
	v_mov_b32_e32 v2, s41
	s_wait_loadcnt 0x0
	ds_add_u64 v0, v[2:3]
	s_trap 2
.LBB2_793:                              ;   in Loop: Header=BB2_760 Depth=3
	s_or_b32 exec_lo, exec_lo, s40
	s_trap 2
	ds_load_b64 v[8:9], v0
	s_wait_dscnt 0x0
	v_add_nc_u64_e32 v[12:13], v[12:13], v[32:33]
	s_mov_b32 s40, exec_lo
	s_delay_alu instid0(VALU_DEP_1)
	v_cmpx_lt_u64_e64 v[8:9], v[12:13]
	s_cbranch_execz .LBB2_802
; %bb.794:                              ;   in Loop: Header=BB2_760 Depth=3
	s_mov_b32 s41, 0
	s_mov_b32 s73, 0
                                        ; implicit-def: $sgpr63
                                        ; implicit-def: $sgpr72
	s_branch .LBB2_796
.LBB2_795:                              ;   in Loop: Header=BB2_796 Depth=4
	s_or_b32 exec_lo, exec_lo, s75
	s_delay_alu instid0(SALU_CYCLE_1) | instskip(NEXT) | instid1(SALU_CYCLE_1)
	s_and_b32 s74, exec_lo, s76
	s_or_b32 s41, s74, s41
	s_and_not1_b32 s63, s63, exec_lo
	s_and_b32 s74, s72, exec_lo
	s_delay_alu instid0(SALU_CYCLE_1)
	s_or_b32 s63, s63, s74
	s_and_not1_b32 exec_lo, exec_lo, s41
	s_cbranch_execz .LBB2_800
.LBB2_796:                              ;   Parent Loop BB2_47 Depth=1
                                        ;     Parent Loop BB2_757 Depth=2
                                        ;       Parent Loop BB2_760 Depth=3
                                        ; =>      This Inner Loop Header: Depth=4
	s_add_co_i32 s73, s73, 1
	s_delay_alu instid0(SALU_CYCLE_1) | instskip(SKIP_1) | instid1(SALU_CYCLE_1)
	s_cmp_lg_u32 s73, 0x2710
	s_cselect_b32 s74, -1, 0
	s_and_b32 vcc_lo, exec_lo, s74
	s_cbranch_vccz .LBB2_798
; %bb.797:                              ;   in Loop: Header=BB2_796 Depth=4
	s_mov_b32 s76, -1
	s_or_b32 s72, s72, exec_lo
	s_and_saveexec_b32 s75, s74
	s_cbranch_execz .LBB2_795
	s_branch .LBB2_799
.LBB2_798:                              ;   in Loop: Header=BB2_796 Depth=4
	s_trap 2
	ds_load_b64 v[8:9], v0
	s_and_not1_b32 s74, s74, exec_lo
	s_mov_b32 s73, 0
	s_wait_loadcnt_dscnt 0x0
	flat_load_b32 v2, v[8:9] scope:SCOPE_SYS
	s_wait_loadcnt_dscnt 0x0
	global_inv scope:SCOPE_SYS
	v_cmp_eq_u32_e32 vcc_lo, 0, v2
	s_and_b32 s75, vcc_lo, exec_lo
	s_delay_alu instid0(SALU_CYCLE_1)
	s_or_b32 s74, s74, s75
	s_mov_b32 s76, -1
	s_or_b32 s72, s72, exec_lo
	s_and_saveexec_b32 s75, s74
	s_cbranch_execz .LBB2_795
.LBB2_799:                              ;   in Loop: Header=BB2_796 Depth=4
	s_sleep 1
	s_trap 2
	ds_load_b64 v[8:9], v0
	s_wait_dscnt 0x0
	s_and_not1_b32 s72, s72, exec_lo
	v_cmp_ge_u64_e32 vcc_lo, v[8:9], v[12:13]
	s_or_not1_b32 s76, vcc_lo, exec_lo
	s_branch .LBB2_795
.LBB2_800:                              ;   in Loop: Header=BB2_760 Depth=3
	s_or_b32 exec_lo, exec_lo, s41
	s_and_saveexec_b32 s41, s63
	s_delay_alu instid0(SALU_CYCLE_1)
	s_xor_b32 s41, exec_lo, s41
	s_cbranch_execz .LBB2_802
; %bb.801:                              ;   in Loop: Header=BB2_760 Depth=3
	ds_store_b32 v0, v57
	s_trap 2
.LBB2_802:                              ;   in Loop: Header=BB2_760 Depth=3
	s_or_b32 exec_lo, exec_lo, s40
	;;#ASMSTART
	s_wakeup
	;;#ASMEND
.LBB2_803:                              ;   in Loop: Header=BB2_760 Depth=3
	s_or_b32 exec_lo, exec_lo, s15
.LBB2_804:                              ;   in Loop: Header=BB2_760 Depth=3
	s_and_not1_saveexec_b32 s14, s14
	s_cbranch_execz .LBB2_806
; %bb.805:                              ;   in Loop: Header=BB2_760 Depth=3
	global_wb scope:SCOPE_DEV
	s_wait_storecnt 0x0
	s_wait_loadcnt_dscnt 0x0
	global_inv scope:SCOPE_DEV
	s_barrier_signal -1
	s_barrier_wait -1
.LBB2_806:                              ;   in Loop: Header=BB2_760 Depth=3
	s_or_b32 exec_lo, exec_lo, s14
.LBB2_807:                              ;   in Loop: Header=BB2_760 Depth=3
	s_delay_alu instid0(SALU_CYCLE_1) | instskip(SKIP_4) | instid1(VALU_DEP_1)
	s_or_b32 exec_lo, exec_lo, s13
	s_trap 2
	ds_load_b32 v8, v0
	v_and_b32_e32 v2, 0x4000, v30
	s_xor_b32 s13, s1, -1
	v_cmp_ne_u32_e32 vcc_lo, 0, v2
	s_and_b32 s14, s13, vcc_lo
	s_delay_alu instid0(SALU_CYCLE_1)
	s_and_saveexec_b32 s13, s14
	s_cbranch_execz .LBB2_826
; %bb.808:                              ;   in Loop: Header=BB2_760 Depth=3
	s_and_saveexec_b32 s14, s3
	s_delay_alu instid0(SALU_CYCLE_1)
	s_xor_b32 s14, exec_lo, s14
	s_cbranch_execz .LBB2_823
; %bb.809:                              ;   in Loop: Header=BB2_760 Depth=3
	s_and_saveexec_b32 s15, s6
	s_cbranch_execz .LBB2_822
; %bb.810:                              ;   in Loop: Header=BB2_760 Depth=3
	s_mov_b32 s41, exec_lo
	s_mov_b32 s40, exec_lo
	v_mbcnt_lo_u32_b32 v2, s41, 0
	global_wb scope:SCOPE_DEV
	s_wait_storecnt 0x0
	s_wait_loadcnt_dscnt 0x0
	global_inv scope:SCOPE_DEV
	v_cmpx_eq_u32_e32 0, v2
	s_cbranch_execz .LBB2_812
; %bb.811:                              ;   in Loop: Header=BB2_760 Depth=3
	s_bcnt1_i32_b32 s41, s41
	s_delay_alu instid0(SALU_CYCLE_1)
	v_mov_b32_e32 v2, s41
	s_wait_loadcnt 0x0
	ds_add_u64 v0, v[2:3]
	s_trap 2
.LBB2_812:                              ;   in Loop: Header=BB2_760 Depth=3
	s_or_b32 exec_lo, exec_lo, s40
	s_trap 2
	ds_load_b64 v[10:11], v0
	s_wait_dscnt 0x0
	v_add_nc_u64_e32 v[12:13], v[12:13], v[32:33]
	s_mov_b32 s40, exec_lo
	s_delay_alu instid0(VALU_DEP_1)
	v_cmpx_lt_u64_e64 v[10:11], v[12:13]
	s_cbranch_execz .LBB2_821
; %bb.813:                              ;   in Loop: Header=BB2_760 Depth=3
	s_mov_b32 s41, 0
	s_mov_b32 s73, 0
                                        ; implicit-def: $sgpr63
                                        ; implicit-def: $sgpr72
	s_branch .LBB2_815
.LBB2_814:                              ;   in Loop: Header=BB2_815 Depth=4
	s_or_b32 exec_lo, exec_lo, s75
	s_delay_alu instid0(SALU_CYCLE_1) | instskip(NEXT) | instid1(SALU_CYCLE_1)
	s_and_b32 s74, exec_lo, s76
	s_or_b32 s41, s74, s41
	s_and_not1_b32 s63, s63, exec_lo
	s_and_b32 s74, s72, exec_lo
	s_delay_alu instid0(SALU_CYCLE_1)
	s_or_b32 s63, s63, s74
	s_and_not1_b32 exec_lo, exec_lo, s41
	s_cbranch_execz .LBB2_819
.LBB2_815:                              ;   Parent Loop BB2_47 Depth=1
                                        ;     Parent Loop BB2_757 Depth=2
                                        ;       Parent Loop BB2_760 Depth=3
                                        ; =>      This Inner Loop Header: Depth=4
	s_add_co_i32 s73, s73, 1
	s_delay_alu instid0(SALU_CYCLE_1) | instskip(SKIP_1) | instid1(SALU_CYCLE_1)
	s_cmp_lg_u32 s73, 0x2710
	s_cselect_b32 s74, -1, 0
	s_and_b32 vcc_lo, exec_lo, s74
	s_cbranch_vccz .LBB2_817
; %bb.816:                              ;   in Loop: Header=BB2_815 Depth=4
	s_mov_b32 s76, -1
	s_or_b32 s72, s72, exec_lo
	s_and_saveexec_b32 s75, s74
	s_cbranch_execz .LBB2_814
	s_branch .LBB2_818
.LBB2_817:                              ;   in Loop: Header=BB2_815 Depth=4
	s_trap 2
	ds_load_b64 v[10:11], v0
	s_and_not1_b32 s74, s74, exec_lo
	s_mov_b32 s73, 0
	s_wait_loadcnt_dscnt 0x0
	flat_load_b32 v2, v[10:11] scope:SCOPE_SYS
	s_wait_loadcnt_dscnt 0x0
	global_inv scope:SCOPE_SYS
	v_cmp_eq_u32_e32 vcc_lo, 0, v2
	s_and_b32 s75, vcc_lo, exec_lo
	s_delay_alu instid0(SALU_CYCLE_1)
	s_or_b32 s74, s74, s75
	s_mov_b32 s76, -1
	s_or_b32 s72, s72, exec_lo
	s_and_saveexec_b32 s75, s74
	s_cbranch_execz .LBB2_814
.LBB2_818:                              ;   in Loop: Header=BB2_815 Depth=4
	s_sleep 1
	s_trap 2
	ds_load_b64 v[10:11], v0
	s_wait_dscnt 0x0
	s_and_not1_b32 s72, s72, exec_lo
	v_cmp_ge_u64_e32 vcc_lo, v[10:11], v[12:13]
	s_or_not1_b32 s76, vcc_lo, exec_lo
	s_branch .LBB2_814
.LBB2_819:                              ;   in Loop: Header=BB2_760 Depth=3
	s_or_b32 exec_lo, exec_lo, s41
	s_and_saveexec_b32 s41, s63
	s_delay_alu instid0(SALU_CYCLE_1)
	s_xor_b32 s41, exec_lo, s41
	s_cbranch_execz .LBB2_821
; %bb.820:                              ;   in Loop: Header=BB2_760 Depth=3
	ds_store_b32 v0, v57
	s_trap 2
.LBB2_821:                              ;   in Loop: Header=BB2_760 Depth=3
	s_or_b32 exec_lo, exec_lo, s40
	;;#ASMSTART
	s_wakeup
	;;#ASMEND
.LBB2_822:                              ;   in Loop: Header=BB2_760 Depth=3
	s_or_b32 exec_lo, exec_lo, s15
.LBB2_823:                              ;   in Loop: Header=BB2_760 Depth=3
	s_and_not1_saveexec_b32 s14, s14
	s_cbranch_execz .LBB2_825
; %bb.824:                              ;   in Loop: Header=BB2_760 Depth=3
	global_wb scope:SCOPE_DEV
	s_wait_storecnt 0x0
	s_wait_loadcnt_dscnt 0x0
	global_inv scope:SCOPE_DEV
	s_barrier_signal -1
	s_barrier_wait -1
.LBB2_825:                              ;   in Loop: Header=BB2_760 Depth=3
	s_or_b32 exec_lo, exec_lo, s14
.LBB2_826:                              ;   in Loop: Header=BB2_760 Depth=3
	s_delay_alu instid0(SALU_CYCLE_1)
	s_or_b32 exec_lo, exec_lo, s13
	s_trap 2
	ds_load_b64 v[114:115], v0
	s_wait_dscnt 0x0
	v_cmp_eq_u64_e32 vcc_lo, 0, v[114:115]
	s_cbranch_vccnz .LBB2_835
; %bb.827:                              ;   in Loop: Header=BB2_760 Depth=3
	s_trap 2
	ds_load_b64 v[116:117], v0
	s_wait_dscnt 0x0
	v_cmp_eq_u64_e32 vcc_lo, 0, v[116:117]
	s_cbranch_vccnz .LBB2_835
; %bb.828:                              ;   in Loop: Header=BB2_760 Depth=3
	s_trap 2
	ds_load_b64 v[118:119], v0
	v_cmp_eq_u32_e32 vcc_lo, 0, v8
	s_mov_b32 s13, -1
	v_cndmask_b32_e32 v2, 0, v100, vcc_lo
	s_delay_alu instid0(VALU_DEP_1)
	v_lshlrev_b32_e32 v101, 2, v2
	s_wait_dscnt 0x0
	v_cmp_ne_u64_e32 vcc_lo, 0, v[118:119]
	s_cbranch_vccz .LBB2_864
; %bb.829:                              ;   in Loop: Header=BB2_760 Depth=3
	s_and_saveexec_b32 s14, s11
	s_cbranch_execz .LBB2_831
; %bb.830:                              ;   in Loop: Header=BB2_760 Depth=3
	ds_load_b32 v8, v0 offset:720
	s_wait_dscnt 0x0
	v_and_b32_e32 v8, 15, v8
	s_delay_alu instid0(VALU_DEP_1)
	v_cmp_eq_u32_e32 vcc_lo, 0, v8
	s_or_not1_b32 s13, vcc_lo, exec_lo
.LBB2_831:                              ;   in Loop: Header=BB2_760 Depth=3
	s_or_b32 exec_lo, exec_lo, s14
	s_and_saveexec_b32 s14, s12
	s_cbranch_execz .LBB2_833
; %bb.832:                              ;   in Loop: Header=BB2_760 Depth=3
	ds_load_b32 v8, v0 offset:784
	s_wait_dscnt 0x0
	v_and_b32_e32 v8, 15, v8
	s_delay_alu instid0(VALU_DEP_1) | instskip(SKIP_3) | instid1(SALU_CYCLE_1)
	v_cmp_eq_u32_e32 vcc_lo, 0, v8
	s_and_b32 s15, s13, vcc_lo
	s_and_not1_b32 s13, s13, exec_lo
	s_and_b32 s15, s15, exec_lo
	s_or_b32 s13, s13, s15
.LBB2_833:                              ;   in Loop: Header=BB2_760 Depth=3
	s_or_b32 exec_lo, exec_lo, s14
	s_xor_b32 s13, s13, -1
	v_dual_mov_b32 v103, 0 :: v_dual_mov_b32 v42, v101
	v_cndmask_b32_e64 v8, 0, 1, s13
	v_mov_b32_e32 v43, v0
	s_mov_b32 s14, -1
	s_delay_alu instid0(VALU_DEP_2)
	v_cmp_ne_u32_e32 vcc_lo, 0, v8
	v_mov_b32_e32 v8, v60
	s_cbranch_vccz .LBB2_836
; %bb.834:                              ;   in Loop: Header=BB2_760 Depth=3
	s_and_saveexec_b32 s15, s14
	s_cbranch_execnz .LBB2_853
	s_branch .LBB2_863
.LBB2_835:                              ;   in Loop: Header=BB2_760 Depth=3
	s_mov_b32 s13, 0
	s_and_saveexec_b32 s14, s2
	s_cbranch_execnz .LBB2_894
	s_branch .LBB2_912
.LBB2_836:                              ;   in Loop: Header=BB2_760 Depth=3
	v_dual_ashrrev_i32 v8, 31, v101 :: v_dual_sub_nc_u32 v103, v101, v36
	s_mov_b32 s63, exec_lo
	s_delay_alu instid0(VALU_DEP_1) | instskip(NEXT) | instid1(VALU_DEP_1)
	v_lshrrev_b32_e32 v8, 23, v8
	v_add_nc_u32_e32 v8, v101, v8
	s_delay_alu instid0(VALU_DEP_1) | instskip(NEXT) | instid1(VALU_DEP_1)
	v_and_b32_e32 v47, 0xfffffe00, v8
	v_dual_ashrrev_i32 v8, 9, v8 :: v_dual_sub_nc_u32 v72, v101, v47
	s_delay_alu instid0(VALU_DEP_1) | instskip(NEXT) | instid1(VALU_DEP_1)
	v_cmp_lt_i32_e64 s13, 15, v72
	v_add_co_ci_u32_e64 v73, null, v8, v62, s13
	v_cmpx_lt_i32_e32 15, v103
	s_cbranch_execz .LBB2_842
; %bb.837:                              ;   in Loop: Header=BB2_760 Depth=3
	v_add_nc_u64_e32 v[40:41], v[114:115], v[36:37]
	v_add_nc_u64_e32 v[42:43], v[116:117], v[36:37]
	v_add_nc_u64_e32 v[44:45], v[118:119], v[36:37]
	s_mov_b32 s72, 0
.LBB2_838:                              ;   Parent Loop BB2_47 Depth=1
                                        ;     Parent Loop BB2_757 Depth=2
                                        ;       Parent Loop BB2_760 Depth=3
                                        ; =>      This Loop Header: Depth=4
                                        ;           Child Loop BB2_839 Depth 5
	global_load_b128 v[8:11], v[40:41], off th:TH_LOAD_NT
	s_mov_b64 s[40:41], 0
	s_mov_b32 s73, -1
.LBB2_839:                              ;   Parent Loop BB2_47 Depth=1
                                        ;     Parent Loop BB2_757 Depth=2
                                        ;       Parent Loop BB2_760 Depth=3
                                        ;         Parent Loop BB2_838 Depth=4
                                        ; =>        This Inner Loop Header: Depth=5
	s_cmp_eq_u32 s40, 1
	s_cselect_b32 vcc_lo, -1, 0
	s_cmp_eq_u32 s40, 0
	s_wait_xcnt 0x0
	v_dual_cndmask_b32 v75, v43, v45 :: v_dual_cndmask_b32 v74, v42, v44
	s_cselect_b32 s14, -1, 0
	s_and_b32 s15, exec_lo, s73
	s_mov_b64 s[40:41], 1
	s_mov_b32 s73, 0
	v_add_nc_u64_e32 v[76:77], 0x200, v[74:75]
	s_wait_loadcnt 0x0
	global_store_b128 v[74:75], v[8:11], off th:TH_STORE_NT
	v_dual_cndmask_b32 v45, v45, v77 :: v_dual_cndmask_b32 v44, v44, v76
	v_dual_cndmask_b32 v43, v43, v77, s14 :: v_dual_cndmask_b32 v42, v42, v76, s14
	s_mov_b32 vcc_lo, s15
	s_cbranch_vccnz .LBB2_839
; %bb.840:                              ;   in Loop: Header=BB2_838 Depth=4
	v_sub_nc_u32_e32 v103, v103, v52
	s_delay_alu instid0(VALU_DEP_2)
	v_add_nc_u64_e32 v[42:43], v[42:43], v[66:67]
	v_add_nc_u64_e32 v[44:45], v[44:45], v[66:67]
	s_wait_xcnt 0x1
	v_add_nc_u64_e32 v[40:41], v[70:71], v[40:41]
	v_sub_nc_u32_e32 v73, v73, v32
	v_cmp_gt_i32_e32 vcc_lo, 16, v103
	s_or_b32 s72, vcc_lo, s72
	s_wait_xcnt 0x0
	s_and_not1_b32 exec_lo, exec_lo, s72
	s_cbranch_execnz .LBB2_838
; %bb.841:                              ;   in Loop: Header=BB2_760 Depth=3
	s_or_b32 exec_lo, exec_lo, s72
.LBB2_842:                              ;   in Loop: Header=BB2_760 Depth=3
	s_delay_alu instid0(SALU_CYCLE_1) | instskip(SKIP_3) | instid1(VALU_DEP_1)
	s_or_b32 exec_lo, exec_lo, s63
	v_dual_mov_b32 v103, 0 :: v_dual_bitop2_b32 v9, 12, v101 bitop3:0x40
	s_mov_b32 s14, 0
	s_mov_b32 s63, exec_lo
                                        ; implicit-def: $vgpr42
                                        ; implicit-def: $vgpr43
                                        ; implicit-def: $vgpr8
	v_cndmask_b32_e64 v63, v72, v9, s13
	s_delay_alu instid0(VALU_DEP_1)
	v_cmpx_ne_u32_e32 0, v63
	s_cbranch_execz .LBB2_852
; %bb.843:                              ;   in Loop: Header=BB2_760 Depth=3
	v_cmp_lt_i32_e32 vcc_lo, 0, v73
	s_mov_b32 s72, exec_lo
	v_dual_ashrrev_i32 v11, 31, v63 :: v_dual_sub_nc_u32 v9, v72, v9
	s_delay_alu instid0(VALU_DEP_1) | instskip(NEXT) | instid1(VALU_DEP_1)
	v_dual_cndmask_b32 v8, 0, v32 :: v_dual_lshrrev_b32 v11, 23, v11
	v_dual_sub_nc_u32 v8, v8, v73 :: v_dual_add_nc_u32 v11, v63, v11
	s_delay_alu instid0(VALU_DEP_1) | instskip(NEXT) | instid1(VALU_DEP_2)
	v_lshl_add_u32 v8, v8, 5, v61
	v_and_b32_e32 v73, 0xfffffe00, v11
	s_delay_alu instid0(VALU_DEP_2) | instskip(NEXT) | instid1(VALU_DEP_1)
	v_dual_ashrrev_i32 v11, 9, v11 :: v_dual_ashrrev_i32 v10, 31, v8
	v_dual_sub_nc_u32 v72, v63, v73 :: v_dual_lshrrev_b32 v10, 27, v10
	s_delay_alu instid0(VALU_DEP_1) | instskip(NEXT) | instid1(VALU_DEP_1)
	v_add_nc_u32_e32 v10, v8, v10
	v_and_b32_e32 v103, 0xffffffe0, v10
	s_delay_alu instid0(VALU_DEP_1) | instskip(NEXT) | instid1(VALU_DEP_1)
	v_dual_ashrrev_i32 v10, 5, v10 :: v_dual_sub_nc_u32 v74, v8, v103
	v_lshlrev_b32_e32 v8, 4, v74
	s_delay_alu instid0(VALU_DEP_1) | instskip(SKIP_2) | instid1(VALU_DEP_3)
	v_lshl_add_u32 v8, v10, 9, v8
	v_cndmask_b32_e64 v9, 0, v9, s13
	v_cmp_lt_i32_e64 s13, 15, v72
	v_sub_nc_u32_e32 v103, v63, v8
	s_delay_alu instid0(VALU_DEP_2) | instskip(NEXT) | instid1(VALU_DEP_1)
	v_add_co_ci_u32_e64 v11, null, 0, v11, s13
	v_dual_add_nc_u32 v47, v9, v47 :: v_dual_sub_nc_u32 v75, v11, v10
	s_delay_alu instid0(VALU_DEP_3)
	v_cmpx_lt_i32_e32 15, v103
	s_cbranch_execz .LBB2_849
; %bb.844:                              ;   in Loop: Header=BB2_760 Depth=3
	s_delay_alu instid0(VALU_DEP_2) | instskip(SKIP_1) | instid1(VALU_DEP_1)
	v_add_nc_u32_e32 v8, v8, v47
	s_mov_b32 s73, 0
	v_ashrrev_i32_e32 v9, 31, v8
	s_delay_alu instid0(VALU_DEP_1)
	v_add_nc_u64_e32 v[40:41], v[8:9], v[114:115]
	v_add_nc_u64_e32 v[42:43], v[8:9], v[116:117]
	;; [unrolled: 1-line block ×3, first 2 shown]
.LBB2_845:                              ;   Parent Loop BB2_47 Depth=1
                                        ;     Parent Loop BB2_757 Depth=2
                                        ;       Parent Loop BB2_760 Depth=3
                                        ; =>      This Loop Header: Depth=4
                                        ;           Child Loop BB2_846 Depth 5
	global_load_b128 v[8:11], v[40:41], off th:TH_LOAD_NT
	s_mov_b64 s[40:41], 0
	s_mov_b32 s74, -1
.LBB2_846:                              ;   Parent Loop BB2_47 Depth=1
                                        ;     Parent Loop BB2_757 Depth=2
                                        ;       Parent Loop BB2_760 Depth=3
                                        ;         Parent Loop BB2_845 Depth=4
                                        ; =>        This Inner Loop Header: Depth=5
	s_cmp_eq_u32 s40, 1
	s_cselect_b32 vcc_lo, -1, 0
	s_cmp_eq_u32 s40, 0
	s_wait_xcnt 0x0
	v_dual_cndmask_b32 v77, v43, v45 :: v_dual_cndmask_b32 v76, v42, v44
	s_cselect_b32 s14, -1, 0
	s_and_b32 s15, exec_lo, s74
	s_mov_b64 s[40:41], 1
	s_mov_b32 s74, 0
	v_add_nc_u64_e32 v[78:79], 0x200, v[76:77]
	s_wait_loadcnt 0x0
	global_store_b128 v[76:77], v[8:11], off th:TH_STORE_NT
	v_dual_cndmask_b32 v45, v45, v79 :: v_dual_cndmask_b32 v44, v44, v78
	v_dual_cndmask_b32 v43, v43, v79, s14 :: v_dual_cndmask_b32 v42, v42, v78, s14
	s_mov_b32 vcc_lo, s15
	s_cbranch_vccnz .LBB2_846
; %bb.847:                              ;   in Loop: Header=BB2_845 Depth=4
	v_sub_nc_u32_e32 v103, v103, v52
	s_delay_alu instid0(VALU_DEP_2)
	v_add_nc_u64_e32 v[42:43], v[42:43], v[66:67]
	v_add_nc_u64_e32 v[44:45], v[44:45], v[66:67]
	s_wait_xcnt 0x1
	v_add_nc_u64_e32 v[40:41], v[70:71], v[40:41]
	v_sub_nc_u32_e32 v75, v75, v32
	v_cmp_gt_i32_e32 vcc_lo, 16, v103
	s_or_b32 s73, vcc_lo, s73
	s_wait_xcnt 0x0
	s_and_not1_b32 exec_lo, exec_lo, s73
	s_cbranch_execnz .LBB2_845
; %bb.848:                              ;   in Loop: Header=BB2_760 Depth=3
	s_or_b32 exec_lo, exec_lo, s73
.LBB2_849:                              ;   in Loop: Header=BB2_760 Depth=3
	s_delay_alu instid0(SALU_CYCLE_1) | instskip(SKIP_3) | instid1(VALU_DEP_1)
	s_or_b32 exec_lo, exec_lo, s72
	v_dual_mov_b32 v103, 0 :: v_dual_bitop2_b32 v9, 12, v63 bitop3:0x40
	s_mov_b32 s14, 0
	s_mov_b32 s15, exec_lo
                                        ; implicit-def: $vgpr43
                                        ; implicit-def: $vgpr8
	v_cndmask_b32_e64 v42, v72, v9, s13
	s_delay_alu instid0(VALU_DEP_1)
	v_cmpx_ne_u32_e32 0, v42
	s_cbranch_execz .LBB2_851
; %bb.850:                              ;   in Loop: Header=BB2_760 Depth=3
	v_cmp_lt_i32_e32 vcc_lo, 0, v75
	s_mov_b32 s14, exec_lo
	v_dual_cndmask_b32 v8, 0, v32 :: v_dual_sub_nc_u32 v9, v72, v9
	s_delay_alu instid0(VALU_DEP_1) | instskip(NEXT) | instid1(VALU_DEP_1)
	v_dual_cndmask_b32 v9, 0, v9, s13 :: v_dual_sub_nc_u32 v8, v8, v75
	v_add3_u32 v103, v73, v47, v9
	s_delay_alu instid0(VALU_DEP_2) | instskip(NEXT) | instid1(VALU_DEP_1)
	v_lshl_add_u32 v43, v8, 5, v74
	v_ashrrev_i32_e32 v8, 31, v43
	s_delay_alu instid0(VALU_DEP_1) | instskip(NEXT) | instid1(VALU_DEP_1)
	v_lshrrev_b32_e32 v8, 27, v8
	v_add_nc_u32_e32 v8, v43, v8
	s_delay_alu instid0(VALU_DEP_1)
	v_ashrrev_i32_e32 v8, 5, v8
.LBB2_851:                              ;   in Loop: Header=BB2_760 Depth=3
	s_or_b32 exec_lo, exec_lo, s15
	s_delay_alu instid0(SALU_CYCLE_1)
	s_and_b32 s14, s14, exec_lo
.LBB2_852:                              ;   in Loop: Header=BB2_760 Depth=3
	s_or_b32 exec_lo, exec_lo, s63
	s_and_saveexec_b32 s15, s14
	s_cbranch_execz .LBB2_863
.LBB2_853:                              ;   in Loop: Header=BB2_760 Depth=3
	v_ashrrev_i32_e32 v9, 31, v42
	s_mov_b32 s13, exec_lo
	s_delay_alu instid0(VALU_DEP_1) | instskip(NEXT) | instid1(VALU_DEP_1)
	v_lshrrev_b32_e32 v9, 24, v9
	v_add_nc_u32_e32 v9, v42, v9
	s_delay_alu instid0(VALU_DEP_1) | instskip(NEXT) | instid1(VALU_DEP_1)
	v_dual_ashrrev_i32 v47, 8, v9 :: v_dual_ashrrev_i32 v9, 31, v43
	v_dual_sub_nc_u32 v44, v47, v8 :: v_dual_lshrrev_b32 v45, 27, v9
	s_delay_alu instid0(VALU_DEP_1)
	v_cmpx_lt_i32_e32 0, v44
	s_cbranch_execz .LBB2_857
; %bb.854:                              ;   in Loop: Header=BB2_760 Depth=3
	s_delay_alu instid0(VALU_DEP_2) | instskip(SKIP_1) | instid1(VALU_DEP_1)
	v_dual_add_nc_u32 v9, v43, v45 :: v_dual_lshlrev_b32 v8, 8, v8
	s_mov_b32 s14, 0
	v_and_b32_e32 v9, 0x3fffffe0, v9
	s_delay_alu instid0(VALU_DEP_1) | instskip(NEXT) | instid1(VALU_DEP_1)
	v_sub_nc_u32_e32 v9, v43, v9
	v_lshlrev_b32_e32 v9, 2, v9
	s_delay_alu instid0(VALU_DEP_1) | instskip(NEXT) | instid1(VALU_DEP_1)
	v_add3_u32 v40, v9, v103, v8
	v_ashrrev_i32_e32 v41, 31, v40
	s_delay_alu instid0(VALU_DEP_1)
	v_add_nc_u64_e32 v[8:9], v[40:41], v[114:115]
	v_add_nc_u64_e32 v[10:11], v[40:41], v[116:117]
	;; [unrolled: 1-line block ×3, first 2 shown]
.LBB2_855:                              ;   Parent Loop BB2_47 Depth=1
                                        ;     Parent Loop BB2_757 Depth=2
                                        ;       Parent Loop BB2_760 Depth=3
                                        ; =>      This Inner Loop Header: Depth=4
	s_clause 0x1
	flat_load_b32 v63, v[8:9] th:TH_LOAD_NT
	flat_load_b32 v72, v[8:9] offset:128 th:TH_LOAD_NT
	v_sub_nc_u32_e32 v44, v44, v32
	s_wait_xcnt 0x0
	v_add_nc_u64_e32 v[8:9], v[8:9], v[54:55]
	s_wait_loadcnt_dscnt 0x101
	flat_store_b32 v[10:11], v63 th:TH_STORE_NT
	s_wait_loadcnt_dscnt 0x1
	flat_store_b32 v[10:11], v72 offset:128 th:TH_STORE_NT
	s_clause 0x1
	flat_store_b32 v[40:41], v63 th:TH_STORE_NT
	flat_store_b32 v[40:41], v72 offset:128 th:TH_STORE_NT
	v_cmp_gt_i32_e32 vcc_lo, 1, v44
	s_wait_xcnt 0x2
	v_add_nc_u64_e32 v[10:11], v[10:11], v[54:55]
	s_wait_xcnt 0x0
	v_add_nc_u64_e32 v[40:41], v[40:41], v[54:55]
	s_or_b32 s14, vcc_lo, s14
	s_delay_alu instid0(SALU_CYCLE_1)
	s_and_not1_b32 exec_lo, exec_lo, s14
	s_cbranch_execnz .LBB2_855
; %bb.856:                              ;   in Loop: Header=BB2_760 Depth=3
	s_or_b32 exec_lo, exec_lo, s14
.LBB2_857:                              ;   in Loop: Header=BB2_760 Depth=3
	s_delay_alu instid0(SALU_CYCLE_1) | instskip(SKIP_1) | instid1(VALU_DEP_1)
	s_or_b32 exec_lo, exec_lo, s13
	v_lshlrev_b32_e32 v8, 8, v47
	v_cmp_ne_u32_e32 vcc_lo, v42, v8
	s_and_b32 exec_lo, exec_lo, vcc_lo
	s_cbranch_execz .LBB2_863
; %bb.858:                              ;   in Loop: Header=BB2_760 Depth=3
	v_dual_add_nc_u32 v9, v43, v45 :: v_dual_lshlrev_b32 v10, 5, v44
	s_delay_alu instid0(VALU_DEP_1) | instskip(NEXT) | instid1(VALU_DEP_1)
	v_and_b32_e32 v9, 0xffffffe0, v9
	v_sub_nc_u32_e32 v9, v43, v9
	s_delay_alu instid0(VALU_DEP_1) | instskip(NEXT) | instid1(VALU_DEP_1)
	v_sub_nc_u32_e32 v9, v9, v10
	v_ashrrev_i32_e32 v10, 31, v9
	s_delay_alu instid0(VALU_DEP_1) | instskip(NEXT) | instid1(VALU_DEP_1)
	v_lshrrev_b32_e32 v10, 27, v10
	v_add_nc_u32_e32 v10, v9, v10
	s_delay_alu instid0(VALU_DEP_1) | instskip(NEXT) | instid1(VALU_DEP_1)
	v_and_b32_e32 v11, 0x3fffffe0, v10
	v_dual_lshlrev_b32 v10, 2, v10 :: v_dual_sub_nc_u32 v9, v9, v11
	s_delay_alu instid0(VALU_DEP_1) | instskip(NEXT) | instid1(VALU_DEP_2)
	v_and_b32_e32 v10, 0xffffff80, v10
	v_lshlrev_b32_e32 v9, 2, v9
	s_delay_alu instid0(VALU_DEP_1) | instskip(NEXT) | instid1(VALU_DEP_1)
	v_add3_u32 v8, v10, v9, v8
	v_sub_nc_u32_e32 v40, v42, v8
	s_delay_alu instid0(VALU_DEP_1)
	v_cmp_lt_i32_e32 vcc_lo, 3, v40
	s_and_b32 exec_lo, exec_lo, vcc_lo
	s_cbranch_execz .LBB2_863
; %bb.859:                              ;   in Loop: Header=BB2_760 Depth=3
	v_add_nc_u32_e32 v42, v8, v103
	s_mov_b32 s63, 0
	s_delay_alu instid0(VALU_DEP_1) | instskip(NEXT) | instid1(VALU_DEP_1)
	v_ashrrev_i32_e32 v43, 31, v42
	v_add_nc_u64_e32 v[8:9], v[42:43], v[114:115]
	v_add_nc_u64_e32 v[10:11], v[42:43], v[116:117]
	;; [unrolled: 1-line block ×3, first 2 shown]
.LBB2_860:                              ;   Parent Loop BB2_47 Depth=1
                                        ;     Parent Loop BB2_757 Depth=2
                                        ;       Parent Loop BB2_760 Depth=3
                                        ; =>      This Loop Header: Depth=4
                                        ;           Child Loop BB2_861 Depth 5
	flat_load_b32 v103, v[8:9] th:TH_LOAD_NT
	s_mov_b64 s[40:41], 0
	s_mov_b32 s72, -1
.LBB2_861:                              ;   Parent Loop BB2_47 Depth=1
                                        ;     Parent Loop BB2_757 Depth=2
                                        ;       Parent Loop BB2_760 Depth=3
                                        ;         Parent Loop BB2_860 Depth=4
                                        ; =>        This Inner Loop Header: Depth=5
	s_cmp_eq_u32 s40, 1
	s_cselect_b32 vcc_lo, -1, 0
	s_cmp_eq_u32 s40, 0
	s_wait_xcnt 0x0
	v_dual_cndmask_b32 v43, v11, v119 :: v_dual_cndmask_b32 v42, v10, v118
	s_cselect_b32 s13, -1, 0
	s_and_b32 s14, exec_lo, s72
	s_mov_b64 s[40:41], 1
	s_mov_b32 s72, 0
	v_add_nc_u64_e32 v[44:45], 0x80, v[42:43]
	s_wait_loadcnt_dscnt 0x0
	flat_store_b32 v[42:43], v103 th:TH_STORE_NT
	v_dual_cndmask_b32 v119, v119, v45 :: v_dual_cndmask_b32 v118, v118, v44
	v_dual_cndmask_b32 v11, v11, v45, s13 :: v_dual_cndmask_b32 v10, v10, v44, s13
	s_mov_b32 vcc_lo, s14
	s_cbranch_vccnz .LBB2_861
; %bb.862:                              ;   in Loop: Header=BB2_860 Depth=4
	v_sub_nc_u32_e32 v40, v40, v64
	s_delay_alu instid0(VALU_DEP_2)
	v_add_nc_u64_e32 v[10:11], v[10:11], v[68:69]
	v_add_nc_u64_e32 v[118:119], v[118:119], v[68:69]
	s_wait_xcnt 0x1
	v_add_nc_u64_e32 v[8:9], v[80:81], v[8:9]
	v_cmp_gt_i32_e32 vcc_lo, 4, v40
	s_or_b32 s63, vcc_lo, s63
	s_wait_xcnt 0x0
	s_and_not1_b32 exec_lo, exec_lo, s63
	s_cbranch_execnz .LBB2_860
.LBB2_863:                              ;   in Loop: Header=BB2_760 Depth=3
	s_or_b32 exec_lo, exec_lo, s15
	s_mov_b32 s13, 0
.LBB2_864:                              ;   in Loop: Header=BB2_760 Depth=3
	s_delay_alu instid0(SALU_CYCLE_1)
	s_and_b32 vcc_lo, exec_lo, s13
	s_cbranch_vccz .LBB2_893
; %bb.865:                              ;   in Loop: Header=BB2_760 Depth=3
	s_mov_b32 s13, -1
	s_and_saveexec_b32 s14, s11
	s_cbranch_execz .LBB2_867
; %bb.866:                              ;   in Loop: Header=BB2_760 Depth=3
	ds_load_b32 v8, v0 offset:720
	s_wait_dscnt 0x0
	v_and_b32_e32 v8, 15, v8
	s_delay_alu instid0(VALU_DEP_1)
	v_cmp_eq_u32_e32 vcc_lo, 0, v8
	s_or_not1_b32 s13, vcc_lo, exec_lo
.LBB2_867:                              ;   in Loop: Header=BB2_760 Depth=3
	s_or_b32 exec_lo, exec_lo, s14
	s_and_saveexec_b32 s14, s10
	s_cbranch_execz .LBB2_869
; %bb.868:                              ;   in Loop: Header=BB2_760 Depth=3
	ds_load_b32 v8, v0 offset:784
	s_wait_dscnt 0x0
	v_and_b32_e32 v8, 15, v8
	s_delay_alu instid0(VALU_DEP_1) | instskip(SKIP_3) | instid1(SALU_CYCLE_1)
	v_cmp_eq_u32_e32 vcc_lo, 0, v8
	s_and_b32 s15, s13, vcc_lo
	s_and_not1_b32 s13, s13, exec_lo
	s_and_b32 s15, s15, exec_lo
	s_or_b32 s13, s13, s15
.LBB2_869:                              ;   in Loop: Header=BB2_760 Depth=3
	s_or_b32 exec_lo, exec_lo, s14
	s_xor_b32 s13, s13, -1
	v_mov_b32_e32 v10, 0
	v_cndmask_b32_e64 v8, 0, 1, s13
	s_mov_b32 s15, -1
	s_delay_alu instid0(VALU_DEP_1)
	v_cmp_ne_u32_e32 vcc_lo, 0, v8
	s_cbranch_vccz .LBB2_871
; %bb.870:                              ;   in Loop: Header=BB2_760 Depth=3
	v_dual_mov_b32 v11, v0 :: v_dual_mov_b32 v8, v60
	s_and_saveexec_b32 s13, s15
	s_cbranch_execnz .LBB2_884
	s_branch .LBB2_892
.LBB2_871:                              ;   in Loop: Header=BB2_760 Depth=3
	v_ashrrev_i32_e32 v8, 31, v101
	s_mov_b32 s13, exec_lo
	s_delay_alu instid0(VALU_DEP_1) | instskip(NEXT) | instid1(VALU_DEP_1)
	v_lshrrev_b32_e32 v8, 22, v8
	v_add_nc_u32_e32 v8, v101, v8
	s_delay_alu instid0(VALU_DEP_1) | instskip(NEXT) | instid1(VALU_DEP_1)
	v_ashrrev_i32_e32 v10, 10, v8
	v_sub_nc_u32_e32 v118, v10, v60
	s_delay_alu instid0(VALU_DEP_1)
	v_cmpx_lt_i32_e32 0, v118
	s_cbranch_execz .LBB2_875
; %bb.872:                              ;   in Loop: Header=BB2_760 Depth=3
	v_mov_b64_e32 v[8:9], v[82:83]
	s_mov_b32 s14, 0
.LBB2_873:                              ;   Parent Loop BB2_47 Depth=1
                                        ;     Parent Loop BB2_757 Depth=2
                                        ;       Parent Loop BB2_760 Depth=3
                                        ; =>      This Inner Loop Header: Depth=4
	s_delay_alu instid0(VALU_DEP_1)
	v_add_nc_u64_e32 v[44:45], v[114:115], v[8:9]
	v_sub_nc_u32_e32 v118, v118, v32
	s_clause 0x1
	global_load_b128 v[40:43], v[44:45], off th:TH_LOAD_NT
	global_load_b128 v[72:75], v[44:45], off offset:512 th:TH_LOAD_NT
	s_wait_xcnt 0x0
	v_add_nc_u64_e32 v[44:45], v[116:117], v[8:9]
	v_cmp_gt_i32_e32 vcc_lo, 1, v118
	v_add_nc_u64_e32 v[8:9], v[8:9], v[50:51]
	s_wait_loadcnt 0x1
	global_store_b128 v[44:45], v[40:43], off th:TH_STORE_NT
	s_wait_loadcnt 0x0
	global_store_b128 v[44:45], v[72:75], off offset:512 th:TH_STORE_NT
	s_or_b32 s14, vcc_lo, s14
	s_wait_xcnt 0x0
	s_and_not1_b32 exec_lo, exec_lo, s14
	s_cbranch_execnz .LBB2_873
; %bb.874:                              ;   in Loop: Header=BB2_760 Depth=3
	s_or_b32 exec_lo, exec_lo, s14
.LBB2_875:                              ;   in Loop: Header=BB2_760 Depth=3
	s_delay_alu instid0(SALU_CYCLE_1) | instskip(SKIP_3) | instid1(VALU_DEP_1)
	s_or_b32 exec_lo, exec_lo, s13
	v_dual_mov_b32 v10, 0 :: v_dual_lshlrev_b32 v103, 10, v10
	s_mov_b32 s15, 0
	s_mov_b32 s14, exec_lo
                                        ; implicit-def: $vgpr11
                                        ; implicit-def: $vgpr8
	v_cmpx_ne_u32_e64 v101, v103
	s_cbranch_execz .LBB2_883
; %bb.876:                              ;   in Loop: Header=BB2_760 Depth=3
	v_dual_lshlrev_b32 v8, 5, v118 :: v_dual_sub_nc_u32 v10, v101, v103
	s_mov_b32 s15, exec_lo
	s_delay_alu instid0(VALU_DEP_1) | instskip(NEXT) | instid1(VALU_DEP_1)
	v_dual_sub_nc_u32 v8, v61, v8 :: v_dual_ashrrev_i32 v11, 31, v10
	v_dual_ashrrev_i32 v9, 31, v8 :: v_dual_lshrrev_b32 v11, 23, v11
	s_delay_alu instid0(VALU_DEP_1) | instskip(NEXT) | instid1(VALU_DEP_1)
	v_lshrrev_b32_e32 v9, 27, v9
	v_add_nc_u32_e32 v9, v8, v9
	s_delay_alu instid0(VALU_DEP_1) | instskip(NEXT) | instid1(VALU_DEP_1)
	v_and_b32_e32 v118, 0xffffffe0, v9
	v_dual_add_nc_u32 v11, v10, v11 :: v_dual_sub_nc_u32 v119, v8, v118
	s_delay_alu instid0(VALU_DEP_1) | instskip(SKIP_1) | instid1(VALU_DEP_2)
	v_and_b32_e32 v118, 0xfffffe00, v11
	v_dual_ashrrev_i32 v9, 5, v9 :: v_dual_ashrrev_i32 v11, 9, v11
	v_dual_lshlrev_b32 v8, 4, v119 :: v_dual_sub_nc_u32 v40, v10, v118
	s_delay_alu instid0(VALU_DEP_1) | instskip(NEXT) | instid1(VALU_DEP_2)
	v_lshl_add_u32 v8, v9, 9, v8
	v_cmp_lt_i32_e32 vcc_lo, 15, v40
	s_delay_alu instid0(VALU_DEP_4) | instskip(NEXT) | instid1(VALU_DEP_1)
	v_add_co_ci_u32_e64 v11, null, 0, v11, vcc_lo
	v_dual_sub_nc_u32 v10, v10, v8 :: v_dual_sub_nc_u32 v41, v11, v9
	s_delay_alu instid0(VALU_DEP_1)
	v_cmpx_lt_i32_e32 15, v10
	s_cbranch_execz .LBB2_880
; %bb.877:                              ;   in Loop: Header=BB2_760 Depth=3
	v_add_nc_u32_e32 v8, v8, v103
	s_mov_b32 s40, 0
	s_delay_alu instid0(VALU_DEP_1)
	v_ashrrev_i32_e32 v9, 31, v8
.LBB2_878:                              ;   Parent Loop BB2_47 Depth=1
                                        ;     Parent Loop BB2_757 Depth=2
                                        ;       Parent Loop BB2_760 Depth=3
                                        ; =>      This Inner Loop Header: Depth=4
	s_delay_alu instid0(VALU_DEP_1) | instskip(SKIP_4) | instid1(VALU_DEP_4)
	v_add_nc_u64_e32 v[42:43], v[114:115], v[8:9]
	v_sub_nc_u32_e32 v10, v10, v52
	v_add_nc_u64_e32 v[72:73], v[116:117], v[8:9]
	v_add_nc_u64_e32 v[8:9], v[8:9], v[52:53]
	v_sub_nc_u32_e32 v41, v41, v32
	v_cmp_gt_i32_e64 s13, 16, v10
	global_load_b128 v[42:45], v[42:43], off th:TH_LOAD_NT
	s_or_b32 s40, s13, s40
	s_wait_loadcnt 0x0
	global_store_b128 v[72:73], v[42:45], off th:TH_STORE_NT
	s_wait_xcnt 0x0
	s_and_not1_b32 exec_lo, exec_lo, s40
	s_cbranch_execnz .LBB2_878
; %bb.879:                              ;   in Loop: Header=BB2_760 Depth=3
	s_or_b32 exec_lo, exec_lo, s40
.LBB2_880:                              ;   in Loop: Header=BB2_760 Depth=3
	s_delay_alu instid0(SALU_CYCLE_1) | instskip(SKIP_3) | instid1(VALU_DEP_1)
	s_or_b32 exec_lo, exec_lo, s15
	v_dual_mov_b32 v10, 0 :: v_dual_bitop2_b32 v9, 12, v101 bitop3:0x40
	s_mov_b32 s15, 0
	s_mov_b32 s40, exec_lo
                                        ; implicit-def: $vgpr11
                                        ; implicit-def: $vgpr8
	v_cndmask_b32_e32 v101, v40, v9, vcc_lo
	s_delay_alu instid0(VALU_DEP_1)
	v_cmpx_ne_u32_e32 0, v101
	s_cbranch_execz .LBB2_882
; %bb.881:                              ;   in Loop: Header=BB2_760 Depth=3
	v_cmp_lt_i32_e64 s13, 0, v41
	s_mov_b32 s15, exec_lo
	v_dual_sub_nc_u32 v9, v40, v9 :: v_dual_cndmask_b32 v8, 0, v32, s13
	s_delay_alu instid0(VALU_DEP_1) | instskip(NEXT) | instid1(VALU_DEP_2)
	v_cndmask_b32_e32 v9, 0, v9, vcc_lo
	v_sub_nc_u32_e32 v8, v8, v41
	s_delay_alu instid0(VALU_DEP_2) | instskip(NEXT) | instid1(VALU_DEP_2)
	v_add3_u32 v10, v118, v103, v9
	v_lshl_add_u32 v11, v8, 5, v119
	s_delay_alu instid0(VALU_DEP_1) | instskip(NEXT) | instid1(VALU_DEP_1)
	v_ashrrev_i32_e32 v8, 31, v11
	v_lshrrev_b32_e32 v8, 27, v8
	s_delay_alu instid0(VALU_DEP_1) | instskip(NEXT) | instid1(VALU_DEP_1)
	v_add_nc_u32_e32 v8, v11, v8
	v_ashrrev_i32_e32 v8, 5, v8
.LBB2_882:                              ;   in Loop: Header=BB2_760 Depth=3
	s_or_b32 exec_lo, exec_lo, s40
	s_delay_alu instid0(SALU_CYCLE_1)
	s_and_b32 s15, s15, exec_lo
.LBB2_883:                              ;   in Loop: Header=BB2_760 Depth=3
	s_or_b32 exec_lo, exec_lo, s14
	s_and_saveexec_b32 s13, s15
	s_cbranch_execz .LBB2_892
.LBB2_884:                              ;   in Loop: Header=BB2_760 Depth=3
	v_ashrrev_i32_e32 v9, 31, v101
	s_mov_b32 s14, exec_lo
	s_delay_alu instid0(VALU_DEP_1) | instskip(NEXT) | instid1(VALU_DEP_1)
	v_lshrrev_b32_e32 v9, 24, v9
	v_add_nc_u32_e32 v9, v101, v9
	s_delay_alu instid0(VALU_DEP_1) | instskip(NEXT) | instid1(VALU_DEP_1)
	v_dual_ashrrev_i32 v119, 8, v9 :: v_dual_ashrrev_i32 v9, 31, v11
	v_dual_sub_nc_u32 v103, v119, v8 :: v_dual_lshrrev_b32 v118, 27, v9
	s_delay_alu instid0(VALU_DEP_1)
	v_cmpx_lt_i32_e32 0, v103
	s_cbranch_execz .LBB2_888
; %bb.885:                              ;   in Loop: Header=BB2_760 Depth=3
	s_delay_alu instid0(VALU_DEP_2) | instskip(SKIP_1) | instid1(VALU_DEP_1)
	v_dual_add_nc_u32 v9, v11, v118 :: v_dual_lshlrev_b32 v8, 8, v8
	s_mov_b32 s15, 0
	v_and_b32_e32 v9, 0x3fffffe0, v9
	s_delay_alu instid0(VALU_DEP_1) | instskip(NEXT) | instid1(VALU_DEP_1)
	v_sub_nc_u32_e32 v9, v11, v9
	v_lshlrev_b32_e32 v9, 2, v9
	s_delay_alu instid0(VALU_DEP_1) | instskip(NEXT) | instid1(VALU_DEP_1)
	v_add3_u32 v8, v9, v10, v8
	v_ashrrev_i32_e32 v9, 31, v8
.LBB2_886:                              ;   Parent Loop BB2_47 Depth=1
                                        ;     Parent Loop BB2_757 Depth=2
                                        ;       Parent Loop BB2_760 Depth=3
                                        ; =>      This Inner Loop Header: Depth=4
	s_delay_alu instid0(VALU_DEP_1)
	v_add_nc_u64_e32 v[40:41], v[114:115], v[8:9]
	v_sub_nc_u32_e32 v103, v103, v32
	s_clause 0x1
	flat_load_b32 v42, v[40:41] th:TH_LOAD_NT
	flat_load_b32 v43, v[40:41] offset:128 th:TH_LOAD_NT
	s_wait_xcnt 0x0
	v_add_nc_u64_e32 v[40:41], v[116:117], v[8:9]
	v_cmp_gt_i32_e32 vcc_lo, 1, v103
	v_add_nc_u64_e32 v[8:9], v[8:9], v[54:55]
	s_wait_loadcnt_dscnt 0x101
	flat_store_b32 v[40:41], v42 th:TH_STORE_NT
	s_wait_loadcnt_dscnt 0x1
	flat_store_b32 v[40:41], v43 offset:128 th:TH_STORE_NT
	s_or_b32 s15, vcc_lo, s15
	s_wait_xcnt 0x0
	s_and_not1_b32 exec_lo, exec_lo, s15
	s_cbranch_execnz .LBB2_886
; %bb.887:                              ;   in Loop: Header=BB2_760 Depth=3
	s_or_b32 exec_lo, exec_lo, s15
.LBB2_888:                              ;   in Loop: Header=BB2_760 Depth=3
	s_delay_alu instid0(SALU_CYCLE_1) | instskip(SKIP_1) | instid1(VALU_DEP_1)
	s_or_b32 exec_lo, exec_lo, s14
	v_lshlrev_b32_e32 v8, 8, v119
	v_cmp_ne_u32_e32 vcc_lo, v101, v8
	s_and_b32 exec_lo, exec_lo, vcc_lo
	s_cbranch_execz .LBB2_892
; %bb.889:                              ;   in Loop: Header=BB2_760 Depth=3
	v_add_nc_u32_e32 v9, v11, v118
	s_delay_alu instid0(VALU_DEP_1) | instskip(NEXT) | instid1(VALU_DEP_1)
	v_and_b32_e32 v9, 0xffffffe0, v9
	v_dual_sub_nc_u32 v9, v11, v9 :: v_dual_lshlrev_b32 v11, 5, v103
	s_delay_alu instid0(VALU_DEP_1) | instskip(NEXT) | instid1(VALU_DEP_1)
	v_sub_nc_u32_e32 v9, v9, v11
	v_ashrrev_i32_e32 v11, 31, v9
	s_delay_alu instid0(VALU_DEP_1) | instskip(NEXT) | instid1(VALU_DEP_1)
	v_lshrrev_b32_e32 v11, 27, v11
	v_add_nc_u32_e32 v11, v9, v11
	s_delay_alu instid0(VALU_DEP_1) | instskip(SKIP_1) | instid1(VALU_DEP_2)
	v_and_b32_e32 v103, 0x3fffffe0, v11
	v_lshlrev_b32_e32 v11, 2, v11
	v_sub_nc_u32_e32 v9, v9, v103
	s_delay_alu instid0(VALU_DEP_2) | instskip(NEXT) | instid1(VALU_DEP_2)
	v_and_b32_e32 v11, 0xffffff80, v11
	v_lshlrev_b32_e32 v9, 2, v9
	s_delay_alu instid0(VALU_DEP_1) | instskip(NEXT) | instid1(VALU_DEP_1)
	v_add3_u32 v8, v11, v9, v8
	v_sub_nc_u32_e32 v11, v101, v8
	s_delay_alu instid0(VALU_DEP_1)
	v_cmp_lt_i32_e32 vcc_lo, 3, v11
	s_and_b32 exec_lo, exec_lo, vcc_lo
	s_cbranch_execz .LBB2_892
; %bb.890:                              ;   in Loop: Header=BB2_760 Depth=3
	v_add_nc_u32_e32 v8, v8, v10
	s_mov_b32 s14, 0
	s_delay_alu instid0(VALU_DEP_1)
	v_ashrrev_i32_e32 v9, 31, v8
.LBB2_891:                              ;   Parent Loop BB2_47 Depth=1
                                        ;     Parent Loop BB2_757 Depth=2
                                        ;       Parent Loop BB2_760 Depth=3
                                        ; =>      This Inner Loop Header: Depth=4
	s_delay_alu instid0(VALU_DEP_1) | instskip(SKIP_1) | instid1(VALU_DEP_1)
	v_add_nc_u64_e32 v[118:119], v[114:115], v[8:9]
	v_sub_nc_u32_e32 v11, v11, v64
	v_cmp_gt_i32_e32 vcc_lo, 4, v11
	flat_load_b32 v10, v[118:119] th:TH_LOAD_NT
	s_wait_xcnt 0x0
	v_add_nc_u64_e32 v[118:119], v[116:117], v[8:9]
	v_add_nc_u64_e32 v[8:9], v[8:9], v[64:65]
	s_or_b32 s14, vcc_lo, s14
	s_wait_loadcnt_dscnt 0x0
	flat_store_b32 v[118:119], v10 th:TH_STORE_NT
	s_wait_xcnt 0x0
	s_and_not1_b32 exec_lo, exec_lo, s14
	s_cbranch_execnz .LBB2_891
.LBB2_892:                              ;   in Loop: Header=BB2_760 Depth=3
	s_or_b32 exec_lo, exec_lo, s13
.LBB2_893:                              ;   in Loop: Header=BB2_760 Depth=3
	v_cmp_lt_i32_e64 s13, 0, v2
	s_and_saveexec_b32 s14, s2
	s_cbranch_execz .LBB2_912
.LBB2_894:                              ;   in Loop: Header=BB2_760 Depth=3
	s_and_saveexec_b32 s15, s3
	s_delay_alu instid0(SALU_CYCLE_1)
	s_xor_b32 s15, exec_lo, s15
	s_cbranch_execz .LBB2_909
; %bb.895:                              ;   in Loop: Header=BB2_760 Depth=3
	s_and_saveexec_b32 s40, s6
	s_cbranch_execz .LBB2_908
; %bb.896:                              ;   in Loop: Header=BB2_760 Depth=3
	s_mov_b32 s63, exec_lo
	s_mov_b32 s41, exec_lo
	v_mbcnt_lo_u32_b32 v2, s63, 0
	global_wb scope:SCOPE_DEV
	s_wait_storecnt 0x0
	s_wait_loadcnt_dscnt 0x0
	global_inv scope:SCOPE_DEV
	v_cmpx_eq_u32_e32 0, v2
	s_cbranch_execz .LBB2_898
; %bb.897:                              ;   in Loop: Header=BB2_760 Depth=3
	s_bcnt1_i32_b32 s63, s63
	s_delay_alu instid0(SALU_CYCLE_1)
	v_mov_b32_e32 v2, s63
	s_wait_loadcnt 0x0
	ds_add_u64 v0, v[2:3]
	s_trap 2
.LBB2_898:                              ;   in Loop: Header=BB2_760 Depth=3
	s_or_b32 exec_lo, exec_lo, s41
	s_trap 2
	ds_load_b64 v[8:9], v0
	s_wait_dscnt 0x0
	v_add_nc_u64_e32 v[12:13], v[12:13], v[32:33]
	s_mov_b32 s41, exec_lo
	s_delay_alu instid0(VALU_DEP_1)
	v_cmpx_lt_u64_e64 v[8:9], v[12:13]
	s_cbranch_execz .LBB2_907
; %bb.899:                              ;   in Loop: Header=BB2_760 Depth=3
	s_mov_b32 s63, 0
	s_mov_b32 s74, 0
                                        ; implicit-def: $sgpr72
                                        ; implicit-def: $sgpr73
	s_branch .LBB2_901
.LBB2_900:                              ;   in Loop: Header=BB2_901 Depth=4
	s_or_b32 exec_lo, exec_lo, s76
	s_delay_alu instid0(SALU_CYCLE_1) | instskip(NEXT) | instid1(SALU_CYCLE_1)
	s_and_b32 s75, exec_lo, s77
	s_or_b32 s63, s75, s63
	s_and_not1_b32 s72, s72, exec_lo
	s_and_b32 s75, s73, exec_lo
	s_delay_alu instid0(SALU_CYCLE_1)
	s_or_b32 s72, s72, s75
	s_and_not1_b32 exec_lo, exec_lo, s63
	s_cbranch_execz .LBB2_905
.LBB2_901:                              ;   Parent Loop BB2_47 Depth=1
                                        ;     Parent Loop BB2_757 Depth=2
                                        ;       Parent Loop BB2_760 Depth=3
                                        ; =>      This Inner Loop Header: Depth=4
	s_add_co_i32 s74, s74, 1
	s_delay_alu instid0(SALU_CYCLE_1) | instskip(SKIP_1) | instid1(SALU_CYCLE_1)
	s_cmp_lg_u32 s74, 0x2710
	s_cselect_b32 s75, -1, 0
	s_and_b32 vcc_lo, exec_lo, s75
	s_cbranch_vccz .LBB2_903
; %bb.902:                              ;   in Loop: Header=BB2_901 Depth=4
	s_mov_b32 s77, -1
	s_or_b32 s73, s73, exec_lo
	s_and_saveexec_b32 s76, s75
	s_cbranch_execz .LBB2_900
	s_branch .LBB2_904
.LBB2_903:                              ;   in Loop: Header=BB2_901 Depth=4
	s_trap 2
	ds_load_b64 v[8:9], v0
	s_and_not1_b32 s75, s75, exec_lo
	s_mov_b32 s74, 0
	s_wait_loadcnt_dscnt 0x0
	flat_load_b32 v2, v[8:9] scope:SCOPE_SYS
	s_wait_loadcnt_dscnt 0x0
	global_inv scope:SCOPE_SYS
	v_cmp_eq_u32_e32 vcc_lo, 0, v2
	s_and_b32 s76, vcc_lo, exec_lo
	s_delay_alu instid0(SALU_CYCLE_1)
	s_or_b32 s75, s75, s76
	s_mov_b32 s77, -1
	s_or_b32 s73, s73, exec_lo
	s_and_saveexec_b32 s76, s75
	s_cbranch_execz .LBB2_900
.LBB2_904:                              ;   in Loop: Header=BB2_901 Depth=4
	s_sleep 1
	s_trap 2
	ds_load_b64 v[8:9], v0
	s_wait_dscnt 0x0
	s_and_not1_b32 s73, s73, exec_lo
	v_cmp_ge_u64_e32 vcc_lo, v[8:9], v[12:13]
	s_or_not1_b32 s77, vcc_lo, exec_lo
	s_branch .LBB2_900
.LBB2_905:                              ;   in Loop: Header=BB2_760 Depth=3
	s_or_b32 exec_lo, exec_lo, s63
	s_and_saveexec_b32 s63, s72
	s_delay_alu instid0(SALU_CYCLE_1)
	s_xor_b32 s63, exec_lo, s63
	s_cbranch_execz .LBB2_907
; %bb.906:                              ;   in Loop: Header=BB2_760 Depth=3
	ds_store_b32 v0, v57
	s_trap 2
.LBB2_907:                              ;   in Loop: Header=BB2_760 Depth=3
	s_or_b32 exec_lo, exec_lo, s41
	;;#ASMSTART
	s_wakeup
	;;#ASMEND
.LBB2_908:                              ;   in Loop: Header=BB2_760 Depth=3
	s_or_b32 exec_lo, exec_lo, s40
.LBB2_909:                              ;   in Loop: Header=BB2_760 Depth=3
	s_and_not1_saveexec_b32 s15, s15
	s_cbranch_execz .LBB2_911
; %bb.910:                              ;   in Loop: Header=BB2_760 Depth=3
	global_wb scope:SCOPE_DEV
	s_wait_storecnt 0x0
	s_wait_loadcnt_dscnt 0x0
	global_inv scope:SCOPE_DEV
	s_barrier_signal -1
	s_barrier_wait -1
.LBB2_911:                              ;   in Loop: Header=BB2_760 Depth=3
	s_or_b32 exec_lo, exec_lo, s15
.LBB2_912:                              ;   in Loop: Header=BB2_760 Depth=3
	s_delay_alu instid0(SALU_CYCLE_1) | instskip(SKIP_2) | instid1(SALU_CYCLE_1)
	s_or_b32 exec_lo, exec_lo, s14
	v_and_b32_e32 v8, 16, v30
	s_and_saveexec_b32 s14, s7
	s_xor_b32 s14, exec_lo, s14
	s_cbranch_execz .LBB2_916
; %bb.913:                              ;   in Loop: Header=BB2_760 Depth=3
	v_and_b32_e32 v2, 16, v30
	v_and_b32_e32 v8, 16, v30
	s_delay_alu instid0(VALU_DEP_2) | instskip(SKIP_1) | instid1(SALU_CYCLE_1)
	v_cmp_ne_u32_e32 vcc_lo, 0, v2
	s_and_b32 s15, vcc_lo, s13
	s_and_saveexec_b32 s13, s15
	s_cbranch_execz .LBB2_915
; %bb.914:                              ;   in Loop: Header=BB2_760 Depth=3
	v_mov_b32_e32 v8, 1
	global_wb scope:SCOPE_SYS
	s_wait_storecnt 0x0
	s_wait_loadcnt_dscnt 0x0
	global_inv scope:SCOPE_SYS
.LBB2_915:                              ;   in Loop: Header=BB2_760 Depth=3
	s_or_b32 exec_lo, exec_lo, s13
.LBB2_916:                              ;   in Loop: Header=BB2_760 Depth=3
	s_and_not1_saveexec_b32 s13, s14
	s_cbranch_execz .LBB2_935
; %bb.917:                              ;   in Loop: Header=BB2_760 Depth=3
	s_and_saveexec_b32 s14, s3
	s_delay_alu instid0(SALU_CYCLE_1)
	s_xor_b32 s14, exec_lo, s14
	s_cbranch_execz .LBB2_932
; %bb.918:                              ;   in Loop: Header=BB2_760 Depth=3
	s_and_saveexec_b32 s15, s6
	s_cbranch_execz .LBB2_931
; %bb.919:                              ;   in Loop: Header=BB2_760 Depth=3
	s_mov_b32 s41, exec_lo
	s_mov_b32 s40, exec_lo
	v_mbcnt_lo_u32_b32 v2, s41, 0
	;;#ASMSTART
	s_waitcnt lgkmcnt(0) vmcnt(0)
	;;#ASMEND
	s_delay_alu instid0(VALU_DEP_1)
	v_cmpx_eq_u32_e32 0, v2
	s_cbranch_execz .LBB2_921
; %bb.920:                              ;   in Loop: Header=BB2_760 Depth=3
	s_bcnt1_i32_b32 s41, s41
	s_delay_alu instid0(SALU_CYCLE_1)
	v_mov_b32_e32 v2, s41
	s_wait_storecnt 0x0
	s_wait_loadcnt_dscnt 0x0
	ds_add_u64 v0, v[2:3]
	s_trap 2
.LBB2_921:                              ;   in Loop: Header=BB2_760 Depth=3
	s_or_b32 exec_lo, exec_lo, s40
	s_trap 2
	ds_load_b64 v[10:11], v0
	s_wait_dscnt 0x0
	v_add_nc_u64_e32 v[12:13], v[12:13], v[32:33]
	s_mov_b32 s40, exec_lo
	s_delay_alu instid0(VALU_DEP_1)
	v_cmpx_lt_u64_e64 v[10:11], v[12:13]
	s_cbranch_execz .LBB2_930
; %bb.922:                              ;   in Loop: Header=BB2_760 Depth=3
	s_mov_b32 s41, 0
	s_mov_b32 s73, 0
                                        ; implicit-def: $sgpr63
                                        ; implicit-def: $sgpr72
	s_branch .LBB2_924
.LBB2_923:                              ;   in Loop: Header=BB2_924 Depth=4
	s_or_b32 exec_lo, exec_lo, s75
	s_delay_alu instid0(SALU_CYCLE_1) | instskip(NEXT) | instid1(SALU_CYCLE_1)
	s_and_b32 s74, exec_lo, s76
	s_or_b32 s41, s74, s41
	s_and_not1_b32 s63, s63, exec_lo
	s_and_b32 s74, s72, exec_lo
	s_delay_alu instid0(SALU_CYCLE_1)
	s_or_b32 s63, s63, s74
	s_and_not1_b32 exec_lo, exec_lo, s41
	s_cbranch_execz .LBB2_928
.LBB2_924:                              ;   Parent Loop BB2_47 Depth=1
                                        ;     Parent Loop BB2_757 Depth=2
                                        ;       Parent Loop BB2_760 Depth=3
                                        ; =>      This Inner Loop Header: Depth=4
	s_add_co_i32 s73, s73, 1
	s_delay_alu instid0(SALU_CYCLE_1) | instskip(SKIP_1) | instid1(SALU_CYCLE_1)
	s_cmp_lg_u32 s73, 0x2710
	s_cselect_b32 s74, -1, 0
	s_and_b32 vcc_lo, exec_lo, s74
	s_cbranch_vccz .LBB2_926
; %bb.925:                              ;   in Loop: Header=BB2_924 Depth=4
	s_mov_b32 s76, -1
	s_or_b32 s72, s72, exec_lo
	s_and_saveexec_b32 s75, s74
	s_cbranch_execz .LBB2_923
	s_branch .LBB2_927
.LBB2_926:                              ;   in Loop: Header=BB2_924 Depth=4
	s_trap 2
	ds_load_b64 v[10:11], v0
	s_and_not1_b32 s74, s74, exec_lo
	s_mov_b32 s73, 0
	s_wait_storecnt 0x0
	s_wait_loadcnt_dscnt 0x0
	flat_load_b32 v2, v[10:11] scope:SCOPE_SYS
	s_wait_loadcnt_dscnt 0x0
	global_inv scope:SCOPE_SYS
	v_cmp_eq_u32_e32 vcc_lo, 0, v2
	s_and_b32 s75, vcc_lo, exec_lo
	s_delay_alu instid0(SALU_CYCLE_1)
	s_or_b32 s74, s74, s75
	s_mov_b32 s76, -1
	s_or_b32 s72, s72, exec_lo
	s_and_saveexec_b32 s75, s74
	s_cbranch_execz .LBB2_923
.LBB2_927:                              ;   in Loop: Header=BB2_924 Depth=4
	s_sleep 1
	s_trap 2
	ds_load_b64 v[10:11], v0
	s_wait_dscnt 0x0
	s_and_not1_b32 s72, s72, exec_lo
	v_cmp_ge_u64_e32 vcc_lo, v[10:11], v[12:13]
	s_or_not1_b32 s76, vcc_lo, exec_lo
	s_branch .LBB2_923
.LBB2_928:                              ;   in Loop: Header=BB2_760 Depth=3
	s_or_b32 exec_lo, exec_lo, s41
	s_and_saveexec_b32 s41, s63
	s_delay_alu instid0(SALU_CYCLE_1)
	s_xor_b32 s41, exec_lo, s41
	s_cbranch_execz .LBB2_930
; %bb.929:                              ;   in Loop: Header=BB2_760 Depth=3
	ds_store_b32 v0, v57
	s_trap 2
.LBB2_930:                              ;   in Loop: Header=BB2_760 Depth=3
	s_or_b32 exec_lo, exec_lo, s40
	;;#ASMSTART
	s_wakeup
	;;#ASMEND
.LBB2_931:                              ;   in Loop: Header=BB2_760 Depth=3
	s_or_b32 exec_lo, exec_lo, s15
.LBB2_932:                              ;   in Loop: Header=BB2_760 Depth=3
	s_and_not1_saveexec_b32 s14, s14
	s_cbranch_execz .LBB2_934
; %bb.933:                              ;   in Loop: Header=BB2_760 Depth=3
	;;#ASMSTART
	s_waitcnt lgkmcnt(0) vmcnt(0)
	;;#ASMEND
	s_barrier_signal -1
	s_barrier_wait -1
.LBB2_934:                              ;   in Loop: Header=BB2_760 Depth=3
	s_or_b32 exec_lo, exec_lo, s14
.LBB2_935:                              ;   in Loop: Header=BB2_760 Depth=3
	s_delay_alu instid0(SALU_CYCLE_1) | instskip(SKIP_2) | instid1(SALU_CYCLE_1)
	s_or_b32 exec_lo, exec_lo, s13
	v_cmp_ne_u32_e32 vcc_lo, 0, v8
	s_xor_b32 s13, s4, -1
	s_and_b32 s14, vcc_lo, s13
	s_delay_alu instid0(SALU_CYCLE_1)
	s_and_saveexec_b32 s13, s14
	s_cbranch_execz .LBB2_937
; %bb.936:                              ;   in Loop: Header=BB2_760 Depth=3
	global_wb scope:SCOPE_SYS
	s_wait_storecnt 0x0
	s_wait_loadcnt_dscnt 0x0
	flat_store_b32 v[26:27], v57 scope:SCOPE_SYS
.LBB2_937:                              ;   in Loop: Header=BB2_760 Depth=3
	s_wait_xcnt 0x0
	s_or_b32 exec_lo, exec_lo, s13
	v_and_b32_e32 v2, 48, v30
	s_mov_b32 s13, exec_lo
	s_delay_alu instid0(VALU_DEP_1)
	v_cmpx_ne_u32_e32 0, v2
	s_cbranch_execz .LBB2_759
; %bb.938:                              ;   in Loop: Header=BB2_760 Depth=3
	v_add_nc_u64_e32 v[86:87], 2, v[86:87]
	global_wb scope:SCOPE_SYS
	s_wait_storecnt 0x0
	s_wait_loadcnt_dscnt 0x0
	flat_store_b64 v[20:21], v[86:87] scope:SCOPE_SYS
	s_branch .LBB2_759
.LBB2_939:                              ;   in Loop: Header=BB2_757 Depth=2
	s_or_b32 exec_lo, exec_lo, s60
.LBB2_940:                              ;   in Loop: Header=BB2_757 Depth=2
	s_delay_alu instid0(SALU_CYCLE_1) | instskip(NEXT) | instid1(SALU_CYCLE_1)
	s_or_b32 exec_lo, exec_lo, s27
	s_mov_b32 s14, exec_lo
	v_cmpx_gt_i32_e32 2, v2
	s_cbranch_execz .LBB2_1016
; %bb.941:                              ;   in Loop: Header=BB2_757 Depth=2
	v_cmp_eq_u32_e64 s27, 0, v2
	s_mov_b32 s15, 0
	s_branch .LBB2_943
.LBB2_942:                              ;   in Loop: Header=BB2_943 Depth=3
	s_wait_xcnt 0x0
	s_or_b32 exec_lo, exec_lo, s13
	v_add_nc_u32_e32 v102, v100, v102
	s_mov_b32 s27, 0
	s_and_not1_b32 exec_lo, exec_lo, s15
	s_cbranch_execz .LBB2_1015
.LBB2_943:                              ;   Parent Loop BB2_47 Depth=1
                                        ;     Parent Loop BB2_757 Depth=2
                                        ; =>    This Loop Header: Depth=3
                                        ;         Child Loop BB2_949 Depth 4
                                        ;         Child Loop BB2_977 Depth 4
	;; [unrolled: 1-line block ×3, first 2 shown]
	s_delay_alu instid0(VALU_DEP_1) | instskip(SKIP_2) | instid1(VALU_DEP_2)
	v_sub_nc_u32_e32 v2, v46, v102
	v_and_b32_e32 v8, 12, v30
	s_mov_b32 s40, exec_lo
	v_min_i32_e32 v100, v100, v2
	s_delay_alu instid0(VALU_DEP_2)
	v_cmpx_ne_u32_e32 0, v8
	s_cbranch_execz .LBB2_969
; %bb.944:                              ;   in Loop: Header=BB2_943 Depth=3
	v_and_b32_e32 v2, 8, v30
	v_add_nc_u64_e32 v[8:9], 2, v[86:87]
	s_mov_b32 s41, exec_lo
	s_wait_loadcnt_dscnt 0x1
	s_delay_alu instid0(VALU_DEP_2) | instskip(NEXT) | instid1(VALU_DEP_1)
	v_add_nc_u64_e32 v[10:11], v[28:29], v[2:3]
	v_cmpx_lt_u64_e64 v[10:11], v[8:9]
	s_cbranch_execz .LBB2_956
; %bb.945:                              ;   in Loop: Header=BB2_943 Depth=3
	v_and_b32_e32 v10, 64, v30
	s_mov_b32 s60, 0
	s_mov_b32 s72, 0
                                        ; implicit-def: $sgpr61
                                        ; implicit-def: $sgpr62
                                        ; implicit-def: $sgpr63
	s_delay_alu instid0(VALU_DEP_1)
	v_cmp_eq_u32_e32 vcc_lo, 0, v10
	s_branch .LBB2_949
.LBB2_946:                              ;   in Loop: Header=BB2_949 Depth=4
	s_wait_loadcnt_dscnt 0x0
	v_add_nc_u64_e32 v[112:113], v[28:29], v[2:3]
	s_or_b32 s75, s75, exec_lo
	s_delay_alu instid0(VALU_DEP_1)
	v_cmp_ge_u64_e64 s13, v[112:113], v[8:9]
	s_or_not1_b32 s74, s13, exec_lo
.LBB2_947:                              ;   in Loop: Header=BB2_949 Depth=4
	s_or_b32 exec_lo, exec_lo, s77
	s_delay_alu instid0(SALU_CYCLE_1)
	s_and_not1_b32 s13, s63, exec_lo
	s_and_b32 s63, s75, exec_lo
	s_and_not1_b32 s62, s62, exec_lo
	s_and_b32 s74, s74, exec_lo
	s_or_b32 s63, s13, s63
	s_or_b32 s62, s62, s74
.LBB2_948:                              ;   in Loop: Header=BB2_949 Depth=4
	s_or_b32 exec_lo, exec_lo, s73
	s_delay_alu instid0(SALU_CYCLE_1) | instskip(NEXT) | instid1(SALU_CYCLE_1)
	s_and_b32 s13, exec_lo, s62
	s_or_b32 s60, s13, s60
	s_and_not1_b32 s13, s61, exec_lo
	s_and_b32 s61, s63, exec_lo
	s_delay_alu instid0(SALU_CYCLE_1)
	s_or_b32 s61, s13, s61
	s_and_not1_b32 exec_lo, exec_lo, s60
	s_cbranch_execz .LBB2_953
.LBB2_949:                              ;   Parent Loop BB2_47 Depth=1
                                        ;     Parent Loop BB2_757 Depth=2
                                        ;       Parent Loop BB2_943 Depth=3
                                        ; =>      This Inner Loop Header: Depth=4
	s_sleep 1
	s_wait_loadcnt_dscnt 0x0
	flat_load_b64 v[28:29], v[20:21] scope:SCOPE_SYS
	s_or_b32 s63, s63, exec_lo
	s_or_b32 s62, s62, exec_lo
                                        ; implicit-def: $vgpr10
	s_wait_xcnt 0x0
	s_and_saveexec_b32 s73, vcc_lo
	s_cbranch_execz .LBB2_948
; %bb.950:                              ;   in Loop: Header=BB2_949 Depth=4
	s_cmp_lt_i32 s72, 0x270f
	s_mov_b32 s74, -1
	s_cselect_b32 s76, -1, 0
	s_cmp_gt_i32 s72, 0x270e
	s_cbranch_scc0 .LBB2_952
; %bb.951:                              ;   in Loop: Header=BB2_949 Depth=4
	s_trap 2
	ds_load_b64 v[10:11], v0
	s_and_not1_b32 s72, s76, exec_lo
	s_mov_b32 s75, 0
	s_wait_storecnt 0x0
	s_wait_loadcnt_dscnt 0x0
	flat_load_b32 v10, v[10:11] scope:SCOPE_SYS
	s_wait_loadcnt_dscnt 0x0
	global_inv scope:SCOPE_SYS
	v_cmp_eq_u32_e64 s13, 0, v10
	s_and_b32 s13, s13, exec_lo
	s_delay_alu instid0(SALU_CYCLE_1)
	s_or_b32 s76, s72, s13
	s_mov_b32 s72, 0
	s_and_saveexec_b32 s77, s76
	s_cbranch_execz .LBB2_947
	s_branch .LBB2_946
.LBB2_952:                              ;   in Loop: Header=BB2_949 Depth=4
	s_add_co_i32 s72, s72, 1
	s_mov_b32 s75, -1
                                        ; implicit-def: $vgpr10
	s_and_saveexec_b32 s77, s76
	s_cbranch_execz .LBB2_947
	s_branch .LBB2_946
.LBB2_953:                              ;   in Loop: Header=BB2_943 Depth=3
	s_or_b32 exec_lo, exec_lo, s60
	s_xor_b32 s13, s61, -1
	s_delay_alu instid0(SALU_CYCLE_1) | instskip(NEXT) | instid1(SALU_CYCLE_1)
	s_and_saveexec_b32 s60, s13
	s_xor_b32 s13, exec_lo, s60
	s_cbranch_execz .LBB2_955
; %bb.954:                              ;   in Loop: Header=BB2_943 Depth=3
	v_or_b32_e32 v30, 64, v30
	s_wait_storecnt 0x0
	s_wait_loadcnt_dscnt 0x0
	ds_store_b32 v0, v10
	s_trap 2
.LBB2_955:                              ;   in Loop: Header=BB2_943 Depth=3
	s_or_b32 exec_lo, exec_lo, s13
.LBB2_956:                              ;   in Loop: Header=BB2_943 Depth=3
	s_delay_alu instid0(SALU_CYCLE_1) | instskip(SKIP_2) | instid1(VALU_DEP_1)
	s_or_b32 exec_lo, exec_lo, s41
	v_and_b32_e32 v10, 0x108, v30
	;;#ASMSTART
	s_wakeup
	;;#ASMEND
	v_cmp_ne_u32_e32 vcc_lo, 0x108, v10
                                        ; implicit-def: $vgpr10_vgpr11
	s_and_saveexec_b32 s13, vcc_lo
	s_delay_alu instid0(SALU_CYCLE_1)
	s_xor_b32 s13, exec_lo, s13
; %bb.957:                              ;   in Loop: Header=BB2_943 Depth=3
	v_dual_mov_b32 v11, v3 :: v_dual_bitop2_b32 v10, 7, v86 bitop3:0x40
                                        ; implicit-def: $vgpr86_vgpr87
; %bb.958:                              ;   in Loop: Header=BB2_943 Depth=3
	s_and_not1_saveexec_b32 s13, s13
	s_cbranch_execz .LBB2_960
; %bb.959:                              ;   in Loop: Header=BB2_943 Depth=3
	v_dual_ashrrev_i32 v101, 31, v100 :: v_dual_bitop2_b32 v10, 7, v86 bitop3:0x40
	v_mov_b32_e32 v11, v3
	s_delay_alu instid0(VALU_DEP_2) | instskip(NEXT) | instid1(VALU_DEP_3)
	v_mad_nc_u64_u32 v[86:87], v10, 24, v[6:7]
	v_lshlrev_b64_e32 v[112:113], 2, v[100:101]
	flat_store_b64 v[86:87], v[112:113] offset:8
.LBB2_960:                              ;   in Loop: Header=BB2_943 Depth=3
	s_wait_xcnt 0x0
	s_or_b32 exec_lo, exec_lo, s13
	v_and_b32_e32 v86, 0x100, v30
	s_mov_b32 s13, -1
	s_delay_alu instid0(VALU_DEP_1)
	v_cmp_ne_u32_e32 vcc_lo, 0, v86
                                        ; implicit-def: $vgpr86_vgpr87
	s_and_saveexec_b32 s41, vcc_lo
	s_cbranch_execz .LBB2_964
; %bb.961:                              ;   in Loop: Header=BB2_943 Depth=3
	v_mad_nc_u64_u32 v[112:113], v10, 24, v[6:7]
	s_delay_alu instid0(VALU_DEP_1)
	v_mad_u32 v113, v11, 24, v113
	flat_load_b32 v86, v[112:113]
	s_wait_loadcnt_dscnt 0x0
	v_cmp_eq_u32_e64 s13, 1, v86
	v_cmp_ne_u32_e32 vcc_lo, 1, v86
                                        ; implicit-def: $vgpr86_vgpr87
	s_wait_xcnt 0x0
	s_and_saveexec_b32 s60, s13
	s_cbranch_execz .LBB2_963
; %bb.962:                              ;   in Loop: Header=BB2_943 Depth=3
	flat_load_b32 v86, v[112:113] offset:4 scope:SCOPE_SYS
	s_wait_loadcnt_dscnt 0x0
	v_ashrrev_i32_e32 v87, 31, v86
	s_delay_alu instid0(VALU_DEP_1)
	v_lshrrev_b64 v[86:87], 2, v[86:87]
.LBB2_963:                              ;   in Loop: Header=BB2_943 Depth=3
	s_wait_xcnt 0x0
	s_or_b32 exec_lo, exec_lo, s60
	s_delay_alu instid0(SALU_CYCLE_1)
	s_or_not1_b32 s13, vcc_lo, exec_lo
.LBB2_964:                              ;   in Loop: Header=BB2_943 Depth=3
	s_or_b32 exec_lo, exec_lo, s41
	s_and_saveexec_b32 s41, s13
; %bb.965:                              ;   in Loop: Header=BB2_943 Depth=3
	v_mul_u64_e32 v[86:87], v[10:11], v[22:23]
; %bb.966:                              ;   in Loop: Header=BB2_943 Depth=3
	s_or_b32 exec_lo, exec_lo, s41
	v_cmp_eq_u32_e32 vcc_lo, 0, v2
	v_and_b32_e32 v101, 0x2000, v30
	s_delay_alu instid0(VALU_DEP_3) | instskip(SKIP_2) | instid1(VALU_DEP_1)
	v_lshl_add_u64 v[10:11], v[86:87], 2, v[24:25]
	s_mov_b32 s13, exec_lo
	v_cndmask_b32_e32 v2, 0xd0, v59, vcc_lo
	v_add_nc_u32_e32 v2, v0, v2
	ds_store_b64 v2, v[10:11] offset:584
	v_cmpx_ne_u32_e32 0, v101
	s_cbranch_execz .LBB2_968
; %bb.967:                              ;   in Loop: Header=BB2_943 Depth=3
	ds_load_b64 v[10:11], v0 offset:872
	s_wait_dscnt 0x0
	v_add_nc_u64_e32 v[10:11], 1, v[10:11]
	ds_store_b64 v0, v[10:11] offset:872
.LBB2_968:                              ;   in Loop: Header=BB2_943 Depth=3
	s_or_b32 exec_lo, exec_lo, s13
	v_mov_b64_e32 v[86:87], v[8:9]
.LBB2_969:                              ;   in Loop: Header=BB2_943 Depth=3
	s_or_b32 exec_lo, exec_lo, s40
	s_xor_b32 s13, s27, -1
	s_delay_alu instid0(SALU_CYCLE_1) | instskip(NEXT) | instid1(SALU_CYCLE_1)
	s_and_b32 s13, exec_lo, s13
	s_or_b32 s15, s13, s15
	s_and_saveexec_b32 s13, s2
	s_cbranch_execz .LBB2_988
; %bb.970:                              ;   in Loop: Header=BB2_943 Depth=3
	s_and_saveexec_b32 s27, s3
	s_delay_alu instid0(SALU_CYCLE_1)
	s_xor_b32 s27, exec_lo, s27
	s_cbranch_execz .LBB2_985
; %bb.971:                              ;   in Loop: Header=BB2_943 Depth=3
	s_and_saveexec_b32 s40, s6
	s_cbranch_execz .LBB2_984
; %bb.972:                              ;   in Loop: Header=BB2_943 Depth=3
	s_mov_b32 s60, exec_lo
	s_mov_b32 s41, exec_lo
	v_mbcnt_lo_u32_b32 v2, s60, 0
	global_wb scope:SCOPE_DEV
	s_wait_storecnt 0x0
	s_wait_loadcnt_dscnt 0x0
	global_inv scope:SCOPE_DEV
	v_cmpx_eq_u32_e32 0, v2
	s_cbranch_execz .LBB2_974
; %bb.973:                              ;   in Loop: Header=BB2_943 Depth=3
	s_bcnt1_i32_b32 s60, s60
	s_delay_alu instid0(SALU_CYCLE_1)
	v_mov_b32_e32 v2, s60
	s_wait_loadcnt 0x0
	ds_add_u64 v0, v[2:3]
	s_trap 2
.LBB2_974:                              ;   in Loop: Header=BB2_943 Depth=3
	s_or_b32 exec_lo, exec_lo, s41
	s_trap 2
	ds_load_b64 v[8:9], v0
	s_wait_dscnt 0x0
	v_add_nc_u64_e32 v[12:13], v[12:13], v[32:33]
	s_mov_b32 s41, exec_lo
	s_delay_alu instid0(VALU_DEP_1)
	v_cmpx_lt_u64_e64 v[8:9], v[12:13]
	s_cbranch_execz .LBB2_983
; %bb.975:                              ;   in Loop: Header=BB2_943 Depth=3
	s_mov_b32 s60, 0
	s_mov_b32 s63, 0
                                        ; implicit-def: $sgpr61
                                        ; implicit-def: $sgpr62
	s_branch .LBB2_977
.LBB2_976:                              ;   in Loop: Header=BB2_977 Depth=4
	s_or_b32 exec_lo, exec_lo, s73
	s_delay_alu instid0(SALU_CYCLE_1) | instskip(NEXT) | instid1(SALU_CYCLE_1)
	s_and_b32 s72, exec_lo, s74
	s_or_b32 s60, s72, s60
	s_and_not1_b32 s61, s61, exec_lo
	s_and_b32 s72, s62, exec_lo
	s_delay_alu instid0(SALU_CYCLE_1)
	s_or_b32 s61, s61, s72
	s_and_not1_b32 exec_lo, exec_lo, s60
	s_cbranch_execz .LBB2_981
.LBB2_977:                              ;   Parent Loop BB2_47 Depth=1
                                        ;     Parent Loop BB2_757 Depth=2
                                        ;       Parent Loop BB2_943 Depth=3
                                        ; =>      This Inner Loop Header: Depth=4
	s_add_co_i32 s63, s63, 1
	s_delay_alu instid0(SALU_CYCLE_1) | instskip(SKIP_1) | instid1(SALU_CYCLE_1)
	s_cmp_lg_u32 s63, 0x2710
	s_cselect_b32 s72, -1, 0
	s_and_b32 vcc_lo, exec_lo, s72
	s_cbranch_vccz .LBB2_979
; %bb.978:                              ;   in Loop: Header=BB2_977 Depth=4
	s_mov_b32 s74, -1
	s_or_b32 s62, s62, exec_lo
	s_and_saveexec_b32 s73, s72
	s_cbranch_execz .LBB2_976
	s_branch .LBB2_980
.LBB2_979:                              ;   in Loop: Header=BB2_977 Depth=4
	s_trap 2
	ds_load_b64 v[8:9], v0
	s_and_not1_b32 s72, s72, exec_lo
	s_mov_b32 s63, 0
	s_wait_loadcnt_dscnt 0x0
	flat_load_b32 v2, v[8:9] scope:SCOPE_SYS
	s_wait_loadcnt_dscnt 0x0
	global_inv scope:SCOPE_SYS
	v_cmp_eq_u32_e32 vcc_lo, 0, v2
	s_and_b32 s73, vcc_lo, exec_lo
	s_delay_alu instid0(SALU_CYCLE_1)
	s_or_b32 s72, s72, s73
	s_mov_b32 s74, -1
	s_or_b32 s62, s62, exec_lo
	s_and_saveexec_b32 s73, s72
	s_cbranch_execz .LBB2_976
.LBB2_980:                              ;   in Loop: Header=BB2_977 Depth=4
	s_sleep 1
	s_trap 2
	ds_load_b64 v[8:9], v0
	s_wait_dscnt 0x0
	s_and_not1_b32 s62, s62, exec_lo
	v_cmp_ge_u64_e32 vcc_lo, v[8:9], v[12:13]
	s_or_not1_b32 s74, vcc_lo, exec_lo
	s_branch .LBB2_976
.LBB2_981:                              ;   in Loop: Header=BB2_943 Depth=3
	s_or_b32 exec_lo, exec_lo, s60
	s_and_saveexec_b32 s60, s61
	s_delay_alu instid0(SALU_CYCLE_1)
	s_xor_b32 s60, exec_lo, s60
	s_cbranch_execz .LBB2_983
; %bb.982:                              ;   in Loop: Header=BB2_943 Depth=3
	ds_store_b32 v0, v57
	s_trap 2
.LBB2_983:                              ;   in Loop: Header=BB2_943 Depth=3
	s_or_b32 exec_lo, exec_lo, s41
	;;#ASMSTART
	s_wakeup
	;;#ASMEND
.LBB2_984:                              ;   in Loop: Header=BB2_943 Depth=3
	s_or_b32 exec_lo, exec_lo, s40
.LBB2_985:                              ;   in Loop: Header=BB2_943 Depth=3
	s_and_not1_saveexec_b32 s27, s27
	s_cbranch_execz .LBB2_987
; %bb.986:                              ;   in Loop: Header=BB2_943 Depth=3
	global_wb scope:SCOPE_DEV
	s_wait_storecnt 0x0
	s_wait_loadcnt_dscnt 0x0
	global_inv scope:SCOPE_DEV
	s_barrier_signal -1
	s_barrier_wait -1
.LBB2_987:                              ;   in Loop: Header=BB2_943 Depth=3
	s_or_b32 exec_lo, exec_lo, s27
.LBB2_988:                              ;   in Loop: Header=BB2_943 Depth=3
	s_delay_alu instid0(SALU_CYCLE_1) | instskip(SKIP_2) | instid1(SALU_CYCLE_1)
	s_or_b32 exec_lo, exec_lo, s13
	v_and_b32_e32 v8, 16, v30
	s_and_saveexec_b32 s13, s7
	s_xor_b32 s27, exec_lo, s13
	s_cbranch_execz .LBB2_992
; %bb.989:                              ;   in Loop: Header=BB2_943 Depth=3
	s_trap 2
	ds_load_b32 v2, v0
	v_cmp_lt_i32_e32 vcc_lo, 0, v100
	v_and_b32_e32 v8, 16, v30
	s_wait_dscnt 0x0
	v_readfirstlane_b32 s13, v2
	v_and_b32_e32 v2, 16, v30
	s_cmp_eq_u32 s13, 0
	s_delay_alu instid0(VALU_DEP_1) | instskip(SKIP_1) | instid1(SALU_CYCLE_1)
	v_cmp_ne_u32_e64 s13, 0, v2
	s_cselect_b32 s40, -1, 0
	s_and_b32 s40, vcc_lo, s40
	s_delay_alu instid0(SALU_CYCLE_1) | instskip(NEXT) | instid1(SALU_CYCLE_1)
	s_and_b32 s40, s13, s40
	s_and_saveexec_b32 s13, s40
	s_cbranch_execz .LBB2_991
; %bb.990:                              ;   in Loop: Header=BB2_943 Depth=3
	v_mov_b32_e32 v8, 1
	global_wb scope:SCOPE_SYS
	s_wait_loadcnt 0x0
	s_wait_storecnt 0x0
	global_inv scope:SCOPE_SYS
.LBB2_991:                              ;   in Loop: Header=BB2_943 Depth=3
	s_or_b32 exec_lo, exec_lo, s13
.LBB2_992:                              ;   in Loop: Header=BB2_943 Depth=3
	s_and_not1_saveexec_b32 s13, s27
	s_cbranch_execz .LBB2_1011
; %bb.993:                              ;   in Loop: Header=BB2_943 Depth=3
	s_and_saveexec_b32 s27, s3
	s_delay_alu instid0(SALU_CYCLE_1)
	s_xor_b32 s27, exec_lo, s27
	s_cbranch_execz .LBB2_1008
; %bb.994:                              ;   in Loop: Header=BB2_943 Depth=3
	s_and_saveexec_b32 s40, s6
	s_cbranch_execz .LBB2_1007
; %bb.995:                              ;   in Loop: Header=BB2_943 Depth=3
	s_mov_b32 s60, exec_lo
	s_mov_b32 s41, exec_lo
	v_mbcnt_lo_u32_b32 v2, s60, 0
	;;#ASMSTART
	s_waitcnt lgkmcnt(0) vmcnt(0)
	;;#ASMEND
	s_delay_alu instid0(VALU_DEP_1)
	v_cmpx_eq_u32_e32 0, v2
	s_cbranch_execz .LBB2_997
; %bb.996:                              ;   in Loop: Header=BB2_943 Depth=3
	s_bcnt1_i32_b32 s60, s60
	s_delay_alu instid0(SALU_CYCLE_1)
	v_mov_b32_e32 v2, s60
	s_wait_storecnt 0x0
	s_wait_loadcnt_dscnt 0x0
	ds_add_u64 v0, v[2:3]
	s_trap 2
.LBB2_997:                              ;   in Loop: Header=BB2_943 Depth=3
	s_or_b32 exec_lo, exec_lo, s41
	s_trap 2
	ds_load_b64 v[10:11], v0
	s_wait_dscnt 0x0
	v_add_nc_u64_e32 v[12:13], v[12:13], v[32:33]
	s_mov_b32 s41, exec_lo
	s_delay_alu instid0(VALU_DEP_1)
	v_cmpx_lt_u64_e64 v[10:11], v[12:13]
	s_cbranch_execz .LBB2_1006
; %bb.998:                              ;   in Loop: Header=BB2_943 Depth=3
	s_mov_b32 s60, 0
	s_mov_b32 s63, 0
                                        ; implicit-def: $sgpr61
                                        ; implicit-def: $sgpr62
	s_branch .LBB2_1000
.LBB2_999:                              ;   in Loop: Header=BB2_1000 Depth=4
	s_or_b32 exec_lo, exec_lo, s73
	s_delay_alu instid0(SALU_CYCLE_1) | instskip(NEXT) | instid1(SALU_CYCLE_1)
	s_and_b32 s72, exec_lo, s74
	s_or_b32 s60, s72, s60
	s_and_not1_b32 s61, s61, exec_lo
	s_and_b32 s72, s62, exec_lo
	s_delay_alu instid0(SALU_CYCLE_1)
	s_or_b32 s61, s61, s72
	s_and_not1_b32 exec_lo, exec_lo, s60
	s_cbranch_execz .LBB2_1004
.LBB2_1000:                             ;   Parent Loop BB2_47 Depth=1
                                        ;     Parent Loop BB2_757 Depth=2
                                        ;       Parent Loop BB2_943 Depth=3
                                        ; =>      This Inner Loop Header: Depth=4
	s_add_co_i32 s63, s63, 1
	s_delay_alu instid0(SALU_CYCLE_1) | instskip(SKIP_1) | instid1(SALU_CYCLE_1)
	s_cmp_lg_u32 s63, 0x2710
	s_cselect_b32 s72, -1, 0
	s_and_b32 vcc_lo, exec_lo, s72
	s_cbranch_vccz .LBB2_1002
; %bb.1001:                             ;   in Loop: Header=BB2_1000 Depth=4
	s_mov_b32 s74, -1
	s_or_b32 s62, s62, exec_lo
	s_and_saveexec_b32 s73, s72
	s_cbranch_execz .LBB2_999
	s_branch .LBB2_1003
.LBB2_1002:                             ;   in Loop: Header=BB2_1000 Depth=4
	s_trap 2
	ds_load_b64 v[10:11], v0
	s_and_not1_b32 s72, s72, exec_lo
	s_mov_b32 s63, 0
	s_wait_storecnt 0x0
	s_wait_loadcnt_dscnt 0x0
	flat_load_b32 v2, v[10:11] scope:SCOPE_SYS
	s_wait_loadcnt_dscnt 0x0
	global_inv scope:SCOPE_SYS
	v_cmp_eq_u32_e32 vcc_lo, 0, v2
	s_and_b32 s73, vcc_lo, exec_lo
	s_delay_alu instid0(SALU_CYCLE_1)
	s_or_b32 s72, s72, s73
	s_mov_b32 s74, -1
	s_or_b32 s62, s62, exec_lo
	s_and_saveexec_b32 s73, s72
	s_cbranch_execz .LBB2_999
.LBB2_1003:                             ;   in Loop: Header=BB2_1000 Depth=4
	s_sleep 1
	s_trap 2
	ds_load_b64 v[10:11], v0
	s_wait_dscnt 0x0
	s_and_not1_b32 s62, s62, exec_lo
	v_cmp_ge_u64_e32 vcc_lo, v[10:11], v[12:13]
	s_or_not1_b32 s74, vcc_lo, exec_lo
	s_branch .LBB2_999
.LBB2_1004:                             ;   in Loop: Header=BB2_943 Depth=3
	s_or_b32 exec_lo, exec_lo, s60
	s_and_saveexec_b32 s60, s61
	s_delay_alu instid0(SALU_CYCLE_1)
	s_xor_b32 s60, exec_lo, s60
	s_cbranch_execz .LBB2_1006
; %bb.1005:                             ;   in Loop: Header=BB2_943 Depth=3
	ds_store_b32 v0, v57
	s_trap 2
.LBB2_1006:                             ;   in Loop: Header=BB2_943 Depth=3
	s_or_b32 exec_lo, exec_lo, s41
	;;#ASMSTART
	s_wakeup
	;;#ASMEND
.LBB2_1007:                             ;   in Loop: Header=BB2_943 Depth=3
	s_or_b32 exec_lo, exec_lo, s40
.LBB2_1008:                             ;   in Loop: Header=BB2_943 Depth=3
	s_and_not1_saveexec_b32 s27, s27
	s_cbranch_execz .LBB2_1010
; %bb.1009:                             ;   in Loop: Header=BB2_943 Depth=3
	;;#ASMSTART
	s_waitcnt lgkmcnt(0) vmcnt(0)
	;;#ASMEND
	s_barrier_signal -1
	s_barrier_wait -1
.LBB2_1010:                             ;   in Loop: Header=BB2_943 Depth=3
	s_or_b32 exec_lo, exec_lo, s27
.LBB2_1011:                             ;   in Loop: Header=BB2_943 Depth=3
	s_delay_alu instid0(SALU_CYCLE_1) | instskip(SKIP_2) | instid1(SALU_CYCLE_1)
	s_or_b32 exec_lo, exec_lo, s13
	v_cmp_ne_u32_e32 vcc_lo, 0, v8
	s_xor_b32 s13, s4, -1
	s_and_b32 s27, vcc_lo, s13
	s_delay_alu instid0(SALU_CYCLE_1)
	s_and_saveexec_b32 s13, s27
	s_cbranch_execz .LBB2_1013
; %bb.1012:                             ;   in Loop: Header=BB2_943 Depth=3
	global_wb scope:SCOPE_SYS
	s_wait_storecnt 0x0
	s_wait_loadcnt_dscnt 0x0
	flat_store_b32 v[26:27], v57 scope:SCOPE_SYS
.LBB2_1013:                             ;   in Loop: Header=BB2_943 Depth=3
	s_wait_xcnt 0x0
	s_or_b32 exec_lo, exec_lo, s13
	v_and_b32_e32 v2, 48, v30
	s_mov_b32 s13, exec_lo
	s_delay_alu instid0(VALU_DEP_1)
	v_cmpx_ne_u32_e32 0, v2
	s_cbranch_execz .LBB2_942
; %bb.1014:                             ;   in Loop: Header=BB2_943 Depth=3
	v_add_nc_u64_e32 v[86:87], 2, v[86:87]
	global_wb scope:SCOPE_SYS
	s_wait_storecnt 0x0
	s_wait_loadcnt_dscnt 0x0
	flat_store_b64 v[20:21], v[86:87] scope:SCOPE_SYS
	s_branch .LBB2_942
.LBB2_1015:                             ;   in Loop: Header=BB2_757 Depth=2
	s_or_b32 exec_lo, exec_lo, s15
.LBB2_1016:                             ;   in Loop: Header=BB2_757 Depth=2
	s_delay_alu instid0(SALU_CYCLE_1)
	s_or_b32 exec_lo, exec_lo, s14
	s_add_co_i32 s13, s18, 1
	s_cmp_eq_u32 s18, s56
	s_cbranch_scc1 .LBB2_1018
; %bb.1017:                             ;   in Loop: Header=BB2_757 Depth=2
	s_mov_b32 s18, s13
	s_branch .LBB2_757
.LBB2_1018:                             ;   in Loop: Header=BB2_47 Depth=1
	v_mul_u64_e32 v[10:11], s[28:29], v[84:85]
	s_delay_alu instid0(VALU_DEP_1) | instskip(NEXT) | instid1(VALU_DEP_1)
	v_sub_nc_u64_e32 v[8:9], v[96:97], v[10:11]
	v_min_i64 v[8:9], v[84:85], v[8:9]
	s_delay_alu instid0(VALU_DEP_1) | instskip(SKIP_1) | instid1(VALU_DEP_2)
	v_max_i32_e32 v102, 0, v8
	v_cmp_lt_i32_e32 vcc_lo, 0, v8
	v_dual_mov_b32 v8, 0 :: v_dual_add_nc_u32 v2, 31, v102
	s_and_b32 s13, s57, vcc_lo
	s_delay_alu instid0(VALU_DEP_1) | instskip(NEXT) | instid1(VALU_DEP_1)
	v_lshrrev_b32_e32 v2, 1, v2
	v_and_b32_e32 v9, 0x3ffffff0, v2
	s_delay_alu instid0(VALU_DEP_1)
	v_dual_mov_b32 v2, 0 :: v_dual_max_i32 v103, s45, v9
	s_and_saveexec_b32 s14, s13
	s_cbranch_execz .LBB2_1158
; %bb.1019:                             ;   in Loop: Header=BB2_47 Depth=1
	v_add_nc_u64_e32 v[8:9], v[10:11], v[98:99]
	s_mov_b32 s27, 1
	s_mov_b32 s18, -1
	s_mov_b32 s15, 0
	s_delay_alu instid0(VALU_DEP_1)
	v_lshlrev_b64_e32 v[10:11], 2, v[8:9]
	v_mov_b32_e32 v8, 0
	s_branch .LBB2_1021
.LBB2_1020:                             ;   in Loop: Header=BB2_1021 Depth=2
	s_wait_xcnt 0x0
	s_or_b32 exec_lo, exec_lo, s13
	v_dual_add_nc_u32 v8, v103, v8 :: v_dual_mov_b32 v2, s27
	s_xor_b32 s13, s18, -1
	s_mov_b32 s18, 0
	s_mov_b32 s27, 2
	s_delay_alu instid0(VALU_DEP_1) | instskip(SKIP_1) | instid1(SALU_CYCLE_1)
	v_cmp_ge_i32_e32 vcc_lo, v8, v102
	s_or_b32 s13, s13, vcc_lo
	s_and_b32 s13, exec_lo, s13
	s_delay_alu instid0(SALU_CYCLE_1) | instskip(NEXT) | instid1(SALU_CYCLE_1)
	s_or_b32 s15, s13, s15
	s_and_not1_b32 exec_lo, exec_lo, s15
	s_cbranch_execz .LBB2_1157
.LBB2_1021:                             ;   Parent Loop BB2_47 Depth=1
                                        ; =>  This Loop Header: Depth=2
                                        ;       Child Loop BB2_1029 Depth 3
                                        ;       Child Loop BB2_1053 Depth 3
	;; [unrolled: 1-line block ×9, first 2 shown]
	s_and_saveexec_b32 s13, s0
	s_cbranch_execz .LBB2_1023
; %bb.1022:                             ;   in Loop: Header=BB2_1021 Depth=2
	s_trap 2
	ds_load_b128 v[96:99], v0
	s_wait_dscnt 0x0
	v_cmp_ne_u64_e32 vcc_lo, 0, v[98:99]
	v_ashrrev_i32_e32 v9, 31, v8
	v_add_nc_u64_e32 v[112:113], v[98:99], v[10:11]
	v_add_nc_u64_e32 v[96:97], v[96:97], v[10:11]
	s_delay_alu instid0(VALU_DEP_3) | instskip(NEXT) | instid1(VALU_DEP_1)
	v_lshlrev_b64_e32 v[100:101], 2, v[8:9]
	v_add_nc_u64_e32 v[112:113], v[112:113], v[100:101]
	s_delay_alu instid0(VALU_DEP_3) | instskip(NEXT) | instid1(VALU_DEP_2)
	v_add_nc_u64_e32 v[96:97], v[96:97], v[100:101]
	v_dual_cndmask_b32 v99, 0, v113 :: v_dual_cndmask_b32 v98, 0, v112
	ds_store_b64 v0, v[96:97]
	ds_store_b64 v0, v[98:99]
.LBB2_1023:                             ;   in Loop: Header=BB2_1021 Depth=2
	s_or_b32 exec_lo, exec_lo, s13
	v_and_b32_e32 v2, 4, v30
	s_mov_b32 s40, exec_lo
	s_delay_alu instid0(VALU_DEP_1)
	v_cmpx_ne_u32_e32 0, v2
	s_cbranch_execz .LBB2_1045
; %bb.1024:                             ;   in Loop: Header=BB2_1021 Depth=2
	v_add_nc_u64_e32 v[96:97], 2, v[86:87]
	s_mov_b32 s41, exec_lo
	s_wait_loadcnt_dscnt 0x1
	s_delay_alu instid0(VALU_DEP_1)
	v_cmpx_lt_u64_e64 v[28:29], v[96:97]
	s_cbranch_execz .LBB2_1036
; %bb.1025:                             ;   in Loop: Header=BB2_1021 Depth=2
	v_and_b32_e32 v2, 64, v30
	s_mov_b32 s60, 0
	s_mov_b32 s72, 0
                                        ; implicit-def: $sgpr61
                                        ; implicit-def: $sgpr62
                                        ; implicit-def: $sgpr63
	s_delay_alu instid0(VALU_DEP_1)
	v_cmp_eq_u32_e32 vcc_lo, 0, v2
	s_branch .LBB2_1029
.LBB2_1026:                             ;   in Loop: Header=BB2_1029 Depth=3
	s_wait_loadcnt_dscnt 0x0
	v_cmp_ge_u64_e64 s13, v[28:29], v[96:97]
	s_or_b32 s75, s75, exec_lo
	s_or_not1_b32 s74, s13, exec_lo
.LBB2_1027:                             ;   in Loop: Header=BB2_1029 Depth=3
	s_or_b32 exec_lo, exec_lo, s77
	s_delay_alu instid0(SALU_CYCLE_1)
	s_and_not1_b32 s13, s63, exec_lo
	s_and_b32 s63, s75, exec_lo
	s_and_not1_b32 s62, s62, exec_lo
	s_and_b32 s74, s74, exec_lo
	s_or_b32 s63, s13, s63
	s_or_b32 s62, s62, s74
.LBB2_1028:                             ;   in Loop: Header=BB2_1029 Depth=3
	s_or_b32 exec_lo, exec_lo, s73
	s_delay_alu instid0(SALU_CYCLE_1) | instskip(NEXT) | instid1(SALU_CYCLE_1)
	s_and_b32 s13, exec_lo, s62
	s_or_b32 s60, s13, s60
	s_and_not1_b32 s13, s61, exec_lo
	s_and_b32 s61, s63, exec_lo
	s_delay_alu instid0(SALU_CYCLE_1)
	s_or_b32 s61, s13, s61
	s_and_not1_b32 exec_lo, exec_lo, s60
	s_cbranch_execz .LBB2_1033
.LBB2_1029:                             ;   Parent Loop BB2_47 Depth=1
                                        ;     Parent Loop BB2_1021 Depth=2
                                        ; =>    This Inner Loop Header: Depth=3
	s_sleep 1
	s_wait_loadcnt_dscnt 0x0
	flat_load_b64 v[28:29], v[20:21] scope:SCOPE_SYS
	s_or_b32 s63, s63, exec_lo
	s_or_b32 s62, s62, exec_lo
                                        ; implicit-def: $vgpr2
	s_wait_xcnt 0x0
	s_and_saveexec_b32 s73, vcc_lo
	s_cbranch_execz .LBB2_1028
; %bb.1030:                             ;   in Loop: Header=BB2_1029 Depth=3
	s_cmp_lt_i32 s72, 0x270f
	s_mov_b32 s74, -1
	s_cselect_b32 s76, -1, 0
	s_cmp_gt_i32 s72, 0x270e
	s_cbranch_scc0 .LBB2_1032
; %bb.1031:                             ;   in Loop: Header=BB2_1029 Depth=3
	s_trap 2
	ds_load_b64 v[98:99], v0
	s_and_not1_b32 s72, s76, exec_lo
	s_mov_b32 s75, 0
	s_wait_storecnt 0x0
	s_wait_loadcnt_dscnt 0x0
	flat_load_b32 v2, v[98:99] scope:SCOPE_SYS
	s_wait_loadcnt_dscnt 0x0
	global_inv scope:SCOPE_SYS
	v_cmp_eq_u32_e64 s13, 0, v2
	s_and_b32 s13, s13, exec_lo
	s_delay_alu instid0(SALU_CYCLE_1)
	s_or_b32 s76, s72, s13
	s_mov_b32 s72, 0
	s_and_saveexec_b32 s77, s76
	s_cbranch_execz .LBB2_1027
	s_branch .LBB2_1026
.LBB2_1032:                             ;   in Loop: Header=BB2_1029 Depth=3
	s_add_co_i32 s72, s72, 1
	s_mov_b32 s75, -1
                                        ; implicit-def: $vgpr2
	s_and_saveexec_b32 s77, s76
	s_cbranch_execz .LBB2_1027
	s_branch .LBB2_1026
.LBB2_1033:                             ;   in Loop: Header=BB2_1021 Depth=2
	s_or_b32 exec_lo, exec_lo, s60
	s_xor_b32 s13, s61, -1
	s_delay_alu instid0(SALU_CYCLE_1) | instskip(NEXT) | instid1(SALU_CYCLE_1)
	s_and_saveexec_b32 s60, s13
	s_xor_b32 s13, exec_lo, s60
	s_cbranch_execz .LBB2_1035
; %bb.1034:                             ;   in Loop: Header=BB2_1021 Depth=2
	v_or_b32_e32 v30, 64, v30
	s_wait_storecnt 0x0
	s_wait_loadcnt_dscnt 0x0
	ds_store_b32 v0, v2
	s_trap 2
.LBB2_1035:                             ;   in Loop: Header=BB2_1021 Depth=2
	s_or_b32 exec_lo, exec_lo, s13
.LBB2_1036:                             ;   in Loop: Header=BB2_1021 Depth=2
	s_delay_alu instid0(SALU_CYCLE_1) | instskip(SKIP_3) | instid1(VALU_DEP_1)
	s_or_b32 exec_lo, exec_lo, s41
	v_and_b32_e32 v2, 0x100, v30
	s_mov_b32 s13, -1
	;;#ASMSTART
	s_wakeup
	;;#ASMEND
	v_cmp_ne_u32_e32 vcc_lo, 0, v2
	v_and_b32_e32 v2, 7, v86
                                        ; implicit-def: $vgpr86_vgpr87
	s_and_saveexec_b32 s41, vcc_lo
	s_cbranch_execz .LBB2_1040
; %bb.1037:                             ;   in Loop: Header=BB2_1021 Depth=2
	s_delay_alu instid0(VALU_DEP_1)
	v_mad_nc_u64_u32 v[98:99], v2, 24, v[6:7]
	s_mov_b32 s60, exec_lo
                                        ; implicit-def: $vgpr86_vgpr87
	flat_load_b32 v9, v[98:99]
	s_wait_loadcnt_dscnt 0x0
	v_cmp_ne_u32_e32 vcc_lo, 1, v9
	s_wait_xcnt 0x0
	v_cmpx_eq_u32_e32 1, v9
	s_cbranch_execz .LBB2_1039
; %bb.1038:                             ;   in Loop: Header=BB2_1021 Depth=2
	flat_load_b32 v86, v[98:99] offset:4 scope:SCOPE_SYS
	s_wait_loadcnt_dscnt 0x0
	v_ashrrev_i32_e32 v87, 31, v86
	s_delay_alu instid0(VALU_DEP_1)
	v_lshrrev_b64 v[86:87], 2, v[86:87]
.LBB2_1039:                             ;   in Loop: Header=BB2_1021 Depth=2
	s_wait_xcnt 0x0
	s_or_b32 exec_lo, exec_lo, s60
	s_delay_alu instid0(SALU_CYCLE_1)
	s_or_not1_b32 s13, vcc_lo, exec_lo
.LBB2_1040:                             ;   in Loop: Header=BB2_1021 Depth=2
	s_or_b32 exec_lo, exec_lo, s41
	s_and_saveexec_b32 s41, s13
; %bb.1041:                             ;   in Loop: Header=BB2_1021 Depth=2
	v_mul_u64_e32 v[86:87], v[2:3], v[22:23]
; %bb.1042:                             ;   in Loop: Header=BB2_1021 Depth=2
	s_or_b32 exec_lo, exec_lo, s41
	v_and_b32_e32 v2, 0x2000, v30
	s_delay_alu instid0(VALU_DEP_2)
	v_lshl_add_u64 v[86:87], v[86:87], 2, v[24:25]
	s_mov_b32 s13, exec_lo
	ds_store_b64 v0, v[86:87] offset:720
	v_cmpx_ne_u32_e32 0, v2
	s_cbranch_execz .LBB2_1044
; %bb.1043:                             ;   in Loop: Header=BB2_1021 Depth=2
	ds_load_b64 v[86:87], v0 offset:872
	s_wait_dscnt 0x0
	v_add_nc_u64_e32 v[86:87], 1, v[86:87]
	ds_store_b64 v0, v[86:87] offset:872
.LBB2_1044:                             ;   in Loop: Header=BB2_1021 Depth=2
	s_or_b32 exec_lo, exec_lo, s13
	v_mov_b64_e32 v[86:87], v[96:97]
.LBB2_1045:                             ;   in Loop: Header=BB2_1021 Depth=2
	s_or_b32 exec_lo, exec_lo, s40
	s_and_saveexec_b32 s13, s2
	s_cbranch_execz .LBB2_1064
; %bb.1046:                             ;   in Loop: Header=BB2_1021 Depth=2
	s_and_saveexec_b32 s40, s3
	s_delay_alu instid0(SALU_CYCLE_1)
	s_xor_b32 s40, exec_lo, s40
	s_cbranch_execz .LBB2_1061
; %bb.1047:                             ;   in Loop: Header=BB2_1021 Depth=2
	s_and_saveexec_b32 s41, s6
	s_cbranch_execz .LBB2_1060
; %bb.1048:                             ;   in Loop: Header=BB2_1021 Depth=2
	s_mov_b32 s61, exec_lo
	s_mov_b32 s60, exec_lo
	v_mbcnt_lo_u32_b32 v2, s61, 0
	global_wb scope:SCOPE_DEV
	s_wait_storecnt 0x0
	s_wait_loadcnt_dscnt 0x0
	global_inv scope:SCOPE_DEV
	v_cmpx_eq_u32_e32 0, v2
	s_cbranch_execz .LBB2_1050
; %bb.1049:                             ;   in Loop: Header=BB2_1021 Depth=2
	s_bcnt1_i32_b32 s61, s61
	s_delay_alu instid0(SALU_CYCLE_1)
	v_mov_b32_e32 v2, s61
	s_wait_loadcnt 0x0
	ds_add_u64 v0, v[2:3]
	s_trap 2
.LBB2_1050:                             ;   in Loop: Header=BB2_1021 Depth=2
	s_or_b32 exec_lo, exec_lo, s60
	s_trap 2
	ds_load_b64 v[96:97], v0
	s_wait_dscnt 0x0
	v_add_nc_u64_e32 v[12:13], v[12:13], v[32:33]
	s_mov_b32 s60, exec_lo
	s_delay_alu instid0(VALU_DEP_1)
	v_cmpx_lt_u64_e64 v[96:97], v[12:13]
	s_cbranch_execz .LBB2_1059
; %bb.1051:                             ;   in Loop: Header=BB2_1021 Depth=2
	s_mov_b32 s61, 0
	s_mov_b32 s72, 0
                                        ; implicit-def: $sgpr62
                                        ; implicit-def: $sgpr63
	s_branch .LBB2_1053
.LBB2_1052:                             ;   in Loop: Header=BB2_1053 Depth=3
	s_or_b32 exec_lo, exec_lo, s74
	s_delay_alu instid0(SALU_CYCLE_1) | instskip(NEXT) | instid1(SALU_CYCLE_1)
	s_and_b32 s73, exec_lo, s75
	s_or_b32 s61, s73, s61
	s_and_not1_b32 s62, s62, exec_lo
	s_and_b32 s73, s63, exec_lo
	s_delay_alu instid0(SALU_CYCLE_1)
	s_or_b32 s62, s62, s73
	s_and_not1_b32 exec_lo, exec_lo, s61
	s_cbranch_execz .LBB2_1057
.LBB2_1053:                             ;   Parent Loop BB2_47 Depth=1
                                        ;     Parent Loop BB2_1021 Depth=2
                                        ; =>    This Inner Loop Header: Depth=3
	s_add_co_i32 s72, s72, 1
	s_delay_alu instid0(SALU_CYCLE_1) | instskip(SKIP_1) | instid1(SALU_CYCLE_1)
	s_cmp_lg_u32 s72, 0x2710
	s_cselect_b32 s73, -1, 0
	s_and_b32 vcc_lo, exec_lo, s73
	s_cbranch_vccz .LBB2_1055
; %bb.1054:                             ;   in Loop: Header=BB2_1053 Depth=3
	s_mov_b32 s75, -1
	s_or_b32 s63, s63, exec_lo
	s_and_saveexec_b32 s74, s73
	s_cbranch_execz .LBB2_1052
	s_branch .LBB2_1056
.LBB2_1055:                             ;   in Loop: Header=BB2_1053 Depth=3
	s_trap 2
	ds_load_b64 v[96:97], v0
	s_and_not1_b32 s73, s73, exec_lo
	s_mov_b32 s72, 0
	s_wait_loadcnt_dscnt 0x0
	flat_load_b32 v2, v[96:97] scope:SCOPE_SYS
	s_wait_loadcnt_dscnt 0x0
	global_inv scope:SCOPE_SYS
	v_cmp_eq_u32_e32 vcc_lo, 0, v2
	s_and_b32 s74, vcc_lo, exec_lo
	s_delay_alu instid0(SALU_CYCLE_1)
	s_or_b32 s73, s73, s74
	s_mov_b32 s75, -1
	s_or_b32 s63, s63, exec_lo
	s_and_saveexec_b32 s74, s73
	s_cbranch_execz .LBB2_1052
.LBB2_1056:                             ;   in Loop: Header=BB2_1053 Depth=3
	s_sleep 1
	s_trap 2
	ds_load_b64 v[96:97], v0
	s_wait_dscnt 0x0
	s_and_not1_b32 s63, s63, exec_lo
	v_cmp_ge_u64_e32 vcc_lo, v[96:97], v[12:13]
	s_or_not1_b32 s75, vcc_lo, exec_lo
	s_branch .LBB2_1052
.LBB2_1057:                             ;   in Loop: Header=BB2_1021 Depth=2
	s_or_b32 exec_lo, exec_lo, s61
	s_and_saveexec_b32 s61, s62
	s_delay_alu instid0(SALU_CYCLE_1)
	s_xor_b32 s61, exec_lo, s61
	s_cbranch_execz .LBB2_1059
; %bb.1058:                             ;   in Loop: Header=BB2_1021 Depth=2
	ds_store_b32 v0, v57
	s_trap 2
.LBB2_1059:                             ;   in Loop: Header=BB2_1021 Depth=2
	s_or_b32 exec_lo, exec_lo, s60
	;;#ASMSTART
	s_wakeup
	;;#ASMEND
.LBB2_1060:                             ;   in Loop: Header=BB2_1021 Depth=2
	s_or_b32 exec_lo, exec_lo, s41
.LBB2_1061:                             ;   in Loop: Header=BB2_1021 Depth=2
	s_and_not1_saveexec_b32 s40, s40
	s_cbranch_execz .LBB2_1063
; %bb.1062:                             ;   in Loop: Header=BB2_1021 Depth=2
	global_wb scope:SCOPE_DEV
	s_wait_storecnt 0x0
	s_wait_loadcnt_dscnt 0x0
	global_inv scope:SCOPE_DEV
	s_barrier_signal -1
	s_barrier_wait -1
.LBB2_1063:                             ;   in Loop: Header=BB2_1021 Depth=2
	s_or_b32 exec_lo, exec_lo, s40
.LBB2_1064:                             ;   in Loop: Header=BB2_1021 Depth=2
	s_delay_alu instid0(SALU_CYCLE_1) | instskip(SKIP_4) | instid1(VALU_DEP_1)
	s_or_b32 exec_lo, exec_lo, s13
	s_trap 2
	ds_load_b32 v9, v0
	v_and_b32_e32 v2, 0x4000, v30
	s_xor_b32 s13, s1, -1
	v_cmp_ne_u32_e32 vcc_lo, 0, v2
	s_and_b32 s40, s13, vcc_lo
	s_delay_alu instid0(SALU_CYCLE_1)
	s_and_saveexec_b32 s13, s40
	s_cbranch_execz .LBB2_1083
; %bb.1065:                             ;   in Loop: Header=BB2_1021 Depth=2
	s_and_saveexec_b32 s40, s3
	s_delay_alu instid0(SALU_CYCLE_1)
	s_xor_b32 s40, exec_lo, s40
	s_cbranch_execz .LBB2_1080
; %bb.1066:                             ;   in Loop: Header=BB2_1021 Depth=2
	s_and_saveexec_b32 s41, s6
	s_cbranch_execz .LBB2_1079
; %bb.1067:                             ;   in Loop: Header=BB2_1021 Depth=2
	s_mov_b32 s61, exec_lo
	s_mov_b32 s60, exec_lo
	v_mbcnt_lo_u32_b32 v2, s61, 0
	global_wb scope:SCOPE_DEV
	s_wait_storecnt 0x0
	s_wait_loadcnt_dscnt 0x0
	global_inv scope:SCOPE_DEV
	v_cmpx_eq_u32_e32 0, v2
	s_cbranch_execz .LBB2_1069
; %bb.1068:                             ;   in Loop: Header=BB2_1021 Depth=2
	s_bcnt1_i32_b32 s61, s61
	s_delay_alu instid0(SALU_CYCLE_1)
	v_mov_b32_e32 v2, s61
	s_wait_loadcnt 0x0
	ds_add_u64 v0, v[2:3]
	s_trap 2
.LBB2_1069:                             ;   in Loop: Header=BB2_1021 Depth=2
	s_or_b32 exec_lo, exec_lo, s60
	s_trap 2
	ds_load_b64 v[96:97], v0
	s_wait_dscnt 0x0
	v_add_nc_u64_e32 v[12:13], v[12:13], v[32:33]
	s_mov_b32 s60, exec_lo
	s_delay_alu instid0(VALU_DEP_1)
	v_cmpx_lt_u64_e64 v[96:97], v[12:13]
	s_cbranch_execz .LBB2_1078
; %bb.1070:                             ;   in Loop: Header=BB2_1021 Depth=2
	s_mov_b32 s61, 0
	s_mov_b32 s72, 0
                                        ; implicit-def: $sgpr62
                                        ; implicit-def: $sgpr63
	s_branch .LBB2_1072
.LBB2_1071:                             ;   in Loop: Header=BB2_1072 Depth=3
	s_or_b32 exec_lo, exec_lo, s74
	s_delay_alu instid0(SALU_CYCLE_1) | instskip(NEXT) | instid1(SALU_CYCLE_1)
	s_and_b32 s73, exec_lo, s75
	s_or_b32 s61, s73, s61
	s_and_not1_b32 s62, s62, exec_lo
	s_and_b32 s73, s63, exec_lo
	s_delay_alu instid0(SALU_CYCLE_1)
	s_or_b32 s62, s62, s73
	s_and_not1_b32 exec_lo, exec_lo, s61
	s_cbranch_execz .LBB2_1076
.LBB2_1072:                             ;   Parent Loop BB2_47 Depth=1
                                        ;     Parent Loop BB2_1021 Depth=2
                                        ; =>    This Inner Loop Header: Depth=3
	s_add_co_i32 s72, s72, 1
	s_delay_alu instid0(SALU_CYCLE_1) | instskip(SKIP_1) | instid1(SALU_CYCLE_1)
	s_cmp_lg_u32 s72, 0x2710
	s_cselect_b32 s73, -1, 0
	s_and_b32 vcc_lo, exec_lo, s73
	s_cbranch_vccz .LBB2_1074
; %bb.1073:                             ;   in Loop: Header=BB2_1072 Depth=3
	s_mov_b32 s75, -1
	s_or_b32 s63, s63, exec_lo
	s_and_saveexec_b32 s74, s73
	s_cbranch_execz .LBB2_1071
	s_branch .LBB2_1075
.LBB2_1074:                             ;   in Loop: Header=BB2_1072 Depth=3
	s_trap 2
	ds_load_b64 v[96:97], v0
	s_and_not1_b32 s73, s73, exec_lo
	s_mov_b32 s72, 0
	s_wait_loadcnt_dscnt 0x0
	flat_load_b32 v2, v[96:97] scope:SCOPE_SYS
	s_wait_loadcnt_dscnt 0x0
	global_inv scope:SCOPE_SYS
	v_cmp_eq_u32_e32 vcc_lo, 0, v2
	s_and_b32 s74, vcc_lo, exec_lo
	s_delay_alu instid0(SALU_CYCLE_1)
	s_or_b32 s73, s73, s74
	s_mov_b32 s75, -1
	s_or_b32 s63, s63, exec_lo
	s_and_saveexec_b32 s74, s73
	s_cbranch_execz .LBB2_1071
.LBB2_1075:                             ;   in Loop: Header=BB2_1072 Depth=3
	s_sleep 1
	s_trap 2
	ds_load_b64 v[96:97], v0
	s_wait_dscnt 0x0
	s_and_not1_b32 s63, s63, exec_lo
	v_cmp_ge_u64_e32 vcc_lo, v[96:97], v[12:13]
	s_or_not1_b32 s75, vcc_lo, exec_lo
	s_branch .LBB2_1071
.LBB2_1076:                             ;   in Loop: Header=BB2_1021 Depth=2
	s_or_b32 exec_lo, exec_lo, s61
	s_and_saveexec_b32 s61, s62
	s_delay_alu instid0(SALU_CYCLE_1)
	s_xor_b32 s61, exec_lo, s61
	s_cbranch_execz .LBB2_1078
; %bb.1077:                             ;   in Loop: Header=BB2_1021 Depth=2
	ds_store_b32 v0, v57
	s_trap 2
.LBB2_1078:                             ;   in Loop: Header=BB2_1021 Depth=2
	s_or_b32 exec_lo, exec_lo, s60
	;;#ASMSTART
	s_wakeup
	;;#ASMEND
.LBB2_1079:                             ;   in Loop: Header=BB2_1021 Depth=2
	s_or_b32 exec_lo, exec_lo, s41
.LBB2_1080:                             ;   in Loop: Header=BB2_1021 Depth=2
	s_and_not1_saveexec_b32 s40, s40
	s_cbranch_execz .LBB2_1082
; %bb.1081:                             ;   in Loop: Header=BB2_1021 Depth=2
	global_wb scope:SCOPE_DEV
	s_wait_storecnt 0x0
	s_wait_loadcnt_dscnt 0x0
	global_inv scope:SCOPE_DEV
	s_barrier_signal -1
	s_barrier_wait -1
.LBB2_1082:                             ;   in Loop: Header=BB2_1021 Depth=2
	s_or_b32 exec_lo, exec_lo, s40
.LBB2_1083:                             ;   in Loop: Header=BB2_1021 Depth=2
	s_delay_alu instid0(SALU_CYCLE_1) | instskip(SKIP_3) | instid1(VALU_DEP_1)
	s_or_b32 exec_lo, exec_lo, s13
	s_trap 2
	ds_load_b64 v[96:97], v0
	v_sub_nc_u32_e32 v2, v102, v8
	v_min_i32_e32 v103, v103, v2
	s_wait_dscnt 0x0
	v_cmp_eq_u64_e32 vcc_lo, 0, v[96:97]
	s_cbranch_vccnz .LBB2_1091
; %bb.1084:                             ;   in Loop: Header=BB2_1021 Depth=2
	s_trap 2
	ds_load_b64 v[98:99], v0
	s_wait_dscnt 0x0
	v_cmp_eq_u64_e32 vcc_lo, 0, v[98:99]
	s_cbranch_vccnz .LBB2_1091
; %bb.1085:                             ;   in Loop: Header=BB2_1021 Depth=2
	s_mov_b32 s13, -1
	s_and_saveexec_b32 s40, s11
	s_cbranch_execz .LBB2_1087
; %bb.1086:                             ;   in Loop: Header=BB2_1021 Depth=2
	ds_load_b32 v2, v0 offset:720
	s_wait_dscnt 0x0
	v_and_b32_e32 v2, 15, v2
	s_delay_alu instid0(VALU_DEP_1)
	v_cmp_eq_u32_e32 vcc_lo, 0, v2
	s_or_not1_b32 s13, vcc_lo, exec_lo
.LBB2_1087:                             ;   in Loop: Header=BB2_1021 Depth=2
	s_or_b32 exec_lo, exec_lo, s40
	s_and_saveexec_b32 s40, s10
	s_cbranch_execz .LBB2_1089
; %bb.1088:                             ;   in Loop: Header=BB2_1021 Depth=2
	ds_load_b32 v2, v0 offset:784
	s_wait_dscnt 0x0
	v_and_b32_e32 v2, 15, v2
	s_delay_alu instid0(VALU_DEP_1) | instskip(SKIP_3) | instid1(SALU_CYCLE_1)
	v_cmp_eq_u32_e32 vcc_lo, 0, v2
	s_and_b32 s41, s13, vcc_lo
	s_and_not1_b32 s13, s13, exec_lo
	s_and_b32 s41, s41, exec_lo
	s_or_b32 s13, s13, s41
.LBB2_1089:                             ;   in Loop: Header=BB2_1021 Depth=2
	s_or_b32 exec_lo, exec_lo, s40
	v_cmp_eq_u32_e32 vcc_lo, 0, v9
	s_xor_b32 s13, s13, -1
	s_mov_b32 s41, -1
	v_cndmask_b32_e64 v100, 0, 1, s13
	v_dual_mov_b32 v112, 0 :: v_dual_cndmask_b32 v2, 0, v103, vcc_lo
	s_delay_alu instid0(VALU_DEP_2) | instskip(NEXT) | instid1(VALU_DEP_2)
	v_cmp_ne_u32_e32 vcc_lo, 0, v100
	v_lshlrev_b32_e32 v9, 2, v2
	s_cbranch_vccz .LBB2_1096
; %bb.1090:                             ;   in Loop: Header=BB2_1021 Depth=2
	v_dual_mov_b32 v113, v0 :: v_dual_mov_b32 v100, v60
	s_and_saveexec_b32 s13, s41
	s_cbranch_execnz .LBB2_1109
	s_branch .LBB2_1117
.LBB2_1091:                             ;   in Loop: Header=BB2_1021 Depth=2
	s_mov_b32 s13, 0
	s_and_saveexec_b32 s40, s2
	s_cbranch_execnz .LBB2_1118
.LBB2_1092:                             ;   in Loop: Header=BB2_1021 Depth=2
	s_or_b32 exec_lo, exec_lo, s40
	s_and_saveexec_b32 s40, s7
	s_delay_alu instid0(SALU_CYCLE_1)
	s_xor_b32 s40, exec_lo, s40
	s_cbranch_execz .LBB2_1136
.LBB2_1093:                             ;   in Loop: Header=BB2_1021 Depth=2
	v_and_b32_e32 v2, 16, v30
	s_delay_alu instid0(VALU_DEP_1) | instskip(SKIP_1) | instid1(SALU_CYCLE_1)
	v_cmp_ne_u32_e32 vcc_lo, 0, v2
	s_and_b32 s41, vcc_lo, s13
	s_and_saveexec_b32 s13, s41
	s_cbranch_execz .LBB2_1095
; %bb.1094:                             ;   in Loop: Header=BB2_1021 Depth=2
	global_wb scope:SCOPE_SYS
	s_wait_storecnt 0x0
	s_wait_loadcnt_dscnt 0x0
	global_inv scope:SCOPE_SYS
.LBB2_1095:                             ;   in Loop: Header=BB2_1021 Depth=2
	s_or_b32 exec_lo, exec_lo, s13
	s_and_not1_saveexec_b32 s13, s40
	s_cbranch_execz .LBB2_1155
	s_branch .LBB2_1137
.LBB2_1096:                             ;   in Loop: Header=BB2_1021 Depth=2
	s_delay_alu instid0(VALU_DEP_1) | instskip(SKIP_1) | instid1(VALU_DEP_1)
	v_ashrrev_i32_e32 v100, 31, v9
	s_mov_b32 s13, exec_lo
	v_lshrrev_b32_e32 v100, 22, v100
	s_delay_alu instid0(VALU_DEP_1) | instskip(NEXT) | instid1(VALU_DEP_1)
	v_add_nc_u32_e32 v100, v9, v100
	v_ashrrev_i32_e32 v112, 10, v100
	s_delay_alu instid0(VALU_DEP_1) | instskip(NEXT) | instid1(VALU_DEP_1)
	v_sub_nc_u32_e32 v115, v112, v60
	v_cmpx_lt_i32_e32 0, v115
	s_cbranch_execz .LBB2_1100
; %bb.1097:                             ;   in Loop: Header=BB2_1021 Depth=2
	v_mov_b64_e32 v[100:101], v[82:83]
	s_mov_b32 s40, 0
.LBB2_1098:                             ;   Parent Loop BB2_47 Depth=1
                                        ;     Parent Loop BB2_1021 Depth=2
                                        ; =>    This Inner Loop Header: Depth=3
	s_delay_alu instid0(VALU_DEP_1)
	v_add_nc_u64_e32 v[40:41], v[96:97], v[100:101]
	v_sub_nc_u32_e32 v115, v115, v32
	v_add_nc_u64_e32 v[44:45], v[98:99], v[100:101]
	v_add_nc_u64_e32 v[100:101], v[100:101], v[50:51]
	s_clause 0x1
	global_load_b128 v[116:119], v[40:41], off th:TH_LOAD_NT
	global_load_b128 v[40:43], v[40:41], off offset:512 th:TH_LOAD_NT
	v_cmp_gt_i32_e32 vcc_lo, 1, v115
	s_wait_loadcnt 0x1
	global_store_b128 v[44:45], v[116:119], off th:TH_STORE_NT
	s_wait_loadcnt 0x0
	global_store_b128 v[44:45], v[40:43], off offset:512 th:TH_STORE_NT
	s_or_b32 s40, vcc_lo, s40
	s_wait_xcnt 0x0
	s_and_not1_b32 exec_lo, exec_lo, s40
	s_cbranch_execnz .LBB2_1098
; %bb.1099:                             ;   in Loop: Header=BB2_1021 Depth=2
	s_or_b32 exec_lo, exec_lo, s40
.LBB2_1100:                             ;   in Loop: Header=BB2_1021 Depth=2
	s_delay_alu instid0(SALU_CYCLE_1) | instskip(SKIP_3) | instid1(VALU_DEP_1)
	s_or_b32 exec_lo, exec_lo, s13
	v_dual_lshlrev_b32 v114, 10, v112 :: v_dual_mov_b32 v112, 0
	s_mov_b32 s41, 0
	s_mov_b32 s40, exec_lo
                                        ; implicit-def: $vgpr113
                                        ; implicit-def: $vgpr100
	v_cmpx_ne_u32_e64 v9, v114
	s_cbranch_execz .LBB2_1108
; %bb.1101:                             ;   in Loop: Header=BB2_1021 Depth=2
	v_dual_lshlrev_b32 v100, 5, v115 :: v_dual_sub_nc_u32 v112, v9, v114
	s_mov_b32 s41, exec_lo
	s_delay_alu instid0(VALU_DEP_1) | instskip(NEXT) | instid1(VALU_DEP_2)
	v_sub_nc_u32_e32 v100, v61, v100
	v_ashrrev_i32_e32 v113, 31, v112
	s_delay_alu instid0(VALU_DEP_1) | instskip(NEXT) | instid1(VALU_DEP_1)
	v_dual_ashrrev_i32 v101, 31, v100 :: v_dual_lshrrev_b32 v113, 23, v113
	v_lshrrev_b32_e32 v101, 27, v101
	s_delay_alu instid0(VALU_DEP_1) | instskip(NEXT) | instid1(VALU_DEP_1)
	v_add_nc_u32_e32 v101, v100, v101
	v_and_b32_e32 v115, 0xffffffe0, v101
	s_delay_alu instid0(VALU_DEP_1) | instskip(NEXT) | instid1(VALU_DEP_1)
	v_dual_ashrrev_i32 v101, 5, v101 :: v_dual_sub_nc_u32 v116, v100, v115
	v_dual_add_nc_u32 v113, v112, v113 :: v_dual_lshlrev_b32 v100, 4, v116
	s_delay_alu instid0(VALU_DEP_1) | instskip(SKIP_1) | instid1(VALU_DEP_3)
	v_and_b32_e32 v115, 0xfffffe00, v113
	v_ashrrev_i32_e32 v113, 9, v113
	v_lshl_add_u32 v100, v101, 9, v100
	s_delay_alu instid0(VALU_DEP_3) | instskip(NEXT) | instid1(VALU_DEP_1)
	v_sub_nc_u32_e32 v117, v112, v115
	v_cmp_lt_i32_e32 vcc_lo, 15, v117
	s_delay_alu instid0(VALU_DEP_4) | instskip(NEXT) | instid1(VALU_DEP_1)
	v_add_co_ci_u32_e64 v113, null, 0, v113, vcc_lo
	v_dual_sub_nc_u32 v112, v112, v100 :: v_dual_sub_nc_u32 v118, v113, v101
	s_delay_alu instid0(VALU_DEP_1)
	v_cmpx_lt_i32_e32 15, v112
	s_cbranch_execz .LBB2_1105
; %bb.1102:                             ;   in Loop: Header=BB2_1021 Depth=2
	v_add_nc_u32_e32 v100, v100, v114
	s_mov_b32 s60, 0
	s_delay_alu instid0(VALU_DEP_1)
	v_ashrrev_i32_e32 v101, 31, v100
.LBB2_1103:                             ;   Parent Loop BB2_47 Depth=1
                                        ;     Parent Loop BB2_1021 Depth=2
                                        ; =>    This Inner Loop Header: Depth=3
	s_delay_alu instid0(VALU_DEP_1) | instskip(SKIP_4) | instid1(VALU_DEP_4)
	v_add_nc_u64_e32 v[40:41], v[96:97], v[100:101]
	v_sub_nc_u32_e32 v112, v112, v52
	v_add_nc_u64_e32 v[44:45], v[98:99], v[100:101]
	v_add_nc_u64_e32 v[100:101], v[100:101], v[52:53]
	v_sub_nc_u32_e32 v118, v118, v32
	v_cmp_gt_i32_e64 s13, 16, v112
	global_load_b128 v[40:43], v[40:41], off th:TH_LOAD_NT
	s_or_b32 s60, s13, s60
	s_wait_loadcnt 0x0
	global_store_b128 v[44:45], v[40:43], off th:TH_STORE_NT
	s_wait_xcnt 0x0
	s_and_not1_b32 exec_lo, exec_lo, s60
	s_cbranch_execnz .LBB2_1103
; %bb.1104:                             ;   in Loop: Header=BB2_1021 Depth=2
	s_or_b32 exec_lo, exec_lo, s60
.LBB2_1105:                             ;   in Loop: Header=BB2_1021 Depth=2
	s_delay_alu instid0(SALU_CYCLE_1) | instskip(SKIP_3) | instid1(VALU_DEP_1)
	s_or_b32 exec_lo, exec_lo, s41
	v_dual_mov_b32 v112, 0 :: v_dual_bitop2_b32 v101, 12, v9 bitop3:0x40
	s_mov_b32 s41, 0
	s_mov_b32 s60, exec_lo
                                        ; implicit-def: $vgpr113
                                        ; implicit-def: $vgpr100
	v_cndmask_b32_e32 v9, v117, v101, vcc_lo
	s_delay_alu instid0(VALU_DEP_1)
	v_cmpx_ne_u32_e32 0, v9
	s_cbranch_execz .LBB2_1107
; %bb.1106:                             ;   in Loop: Header=BB2_1021 Depth=2
	v_cmp_lt_i32_e64 s13, 0, v118
	s_mov_b32 s41, exec_lo
	v_dual_sub_nc_u32 v101, v117, v101 :: v_dual_cndmask_b32 v100, 0, v32, s13
	s_delay_alu instid0(VALU_DEP_1) | instskip(NEXT) | instid1(VALU_DEP_1)
	v_dual_cndmask_b32 v101, 0, v101 :: v_dual_sub_nc_u32 v100, v100, v118
	v_add3_u32 v112, v115, v114, v101
	s_delay_alu instid0(VALU_DEP_2) | instskip(NEXT) | instid1(VALU_DEP_1)
	v_lshl_add_u32 v113, v100, 5, v116
	v_ashrrev_i32_e32 v100, 31, v113
	s_delay_alu instid0(VALU_DEP_1) | instskip(NEXT) | instid1(VALU_DEP_1)
	v_lshrrev_b32_e32 v100, 27, v100
	v_add_nc_u32_e32 v100, v113, v100
	s_delay_alu instid0(VALU_DEP_1)
	v_ashrrev_i32_e32 v100, 5, v100
.LBB2_1107:                             ;   in Loop: Header=BB2_1021 Depth=2
	s_or_b32 exec_lo, exec_lo, s60
	s_delay_alu instid0(SALU_CYCLE_1)
	s_and_b32 s41, s41, exec_lo
.LBB2_1108:                             ;   in Loop: Header=BB2_1021 Depth=2
	s_or_b32 exec_lo, exec_lo, s40
	s_and_saveexec_b32 s13, s41
	s_cbranch_execz .LBB2_1117
.LBB2_1109:                             ;   in Loop: Header=BB2_1021 Depth=2
	v_ashrrev_i32_e32 v101, 31, v9
	s_mov_b32 s40, exec_lo
	s_delay_alu instid0(VALU_DEP_1) | instskip(NEXT) | instid1(VALU_DEP_1)
	v_lshrrev_b32_e32 v101, 24, v101
	v_add_nc_u32_e32 v101, v9, v101
	s_delay_alu instid0(VALU_DEP_1) | instskip(SKIP_1) | instid1(VALU_DEP_1)
	v_ashrrev_i32_e32 v116, 8, v101
	v_ashrrev_i32_e32 v101, 31, v113
	v_dual_lshrrev_b32 v115, 27, v101 :: v_dual_sub_nc_u32 v114, v116, v100
	s_delay_alu instid0(VALU_DEP_1)
	v_cmpx_lt_i32_e32 0, v114
	s_cbranch_execz .LBB2_1113
; %bb.1110:                             ;   in Loop: Header=BB2_1021 Depth=2
	s_delay_alu instid0(VALU_DEP_2) | instskip(SKIP_1) | instid1(VALU_DEP_1)
	v_dual_add_nc_u32 v101, v113, v115 :: v_dual_lshlrev_b32 v100, 8, v100
	s_mov_b32 s41, 0
	v_and_b32_e32 v101, 0x3fffffe0, v101
	s_delay_alu instid0(VALU_DEP_1) | instskip(NEXT) | instid1(VALU_DEP_1)
	v_sub_nc_u32_e32 v101, v113, v101
	v_lshlrev_b32_e32 v101, 2, v101
	s_delay_alu instid0(VALU_DEP_1) | instskip(NEXT) | instid1(VALU_DEP_1)
	v_add3_u32 v100, v101, v112, v100
	v_ashrrev_i32_e32 v101, 31, v100
.LBB2_1111:                             ;   Parent Loop BB2_47 Depth=1
                                        ;     Parent Loop BB2_1021 Depth=2
                                        ; =>    This Inner Loop Header: Depth=3
	s_delay_alu instid0(VALU_DEP_1)
	v_add_nc_u64_e32 v[118:119], v[96:97], v[100:101]
	v_sub_nc_u32_e32 v114, v114, v32
	s_clause 0x1
	flat_load_b32 v117, v[118:119] th:TH_LOAD_NT
	flat_load_b32 v40, v[118:119] offset:128 th:TH_LOAD_NT
	s_wait_xcnt 0x0
	v_add_nc_u64_e32 v[118:119], v[98:99], v[100:101]
	v_cmp_gt_i32_e32 vcc_lo, 1, v114
	v_add_nc_u64_e32 v[100:101], v[100:101], v[54:55]
	s_wait_loadcnt_dscnt 0x101
	flat_store_b32 v[118:119], v117 th:TH_STORE_NT
	s_wait_loadcnt_dscnt 0x1
	flat_store_b32 v[118:119], v40 offset:128 th:TH_STORE_NT
	s_or_b32 s41, vcc_lo, s41
	s_wait_xcnt 0x0
	s_and_not1_b32 exec_lo, exec_lo, s41
	s_cbranch_execnz .LBB2_1111
; %bb.1112:                             ;   in Loop: Header=BB2_1021 Depth=2
	s_or_b32 exec_lo, exec_lo, s41
.LBB2_1113:                             ;   in Loop: Header=BB2_1021 Depth=2
	s_delay_alu instid0(SALU_CYCLE_1) | instskip(SKIP_1) | instid1(VALU_DEP_1)
	s_or_b32 exec_lo, exec_lo, s40
	v_lshlrev_b32_e32 v100, 8, v116
	v_cmp_ne_u32_e32 vcc_lo, v9, v100
	s_and_b32 exec_lo, exec_lo, vcc_lo
	s_cbranch_execz .LBB2_1117
; %bb.1114:                             ;   in Loop: Header=BB2_1021 Depth=2
	v_add_nc_u32_e32 v101, v113, v115
	s_delay_alu instid0(VALU_DEP_1) | instskip(NEXT) | instid1(VALU_DEP_1)
	v_and_b32_e32 v101, 0xffffffe0, v101
	v_dual_sub_nc_u32 v101, v113, v101 :: v_dual_lshlrev_b32 v113, 5, v114
	s_delay_alu instid0(VALU_DEP_1) | instskip(NEXT) | instid1(VALU_DEP_1)
	v_sub_nc_u32_e32 v101, v101, v113
	v_ashrrev_i32_e32 v113, 31, v101
	s_delay_alu instid0(VALU_DEP_1) | instskip(NEXT) | instid1(VALU_DEP_1)
	v_lshrrev_b32_e32 v113, 27, v113
	v_add_nc_u32_e32 v113, v101, v113
	s_delay_alu instid0(VALU_DEP_1) | instskip(NEXT) | instid1(VALU_DEP_1)
	v_and_b32_e32 v114, 0x3fffffe0, v113
	v_dual_lshlrev_b32 v113, 2, v113 :: v_dual_sub_nc_u32 v101, v101, v114
	s_delay_alu instid0(VALU_DEP_1) | instskip(NEXT) | instid1(VALU_DEP_2)
	v_and_b32_e32 v113, 0xffffff80, v113
	v_lshlrev_b32_e32 v101, 2, v101
	s_delay_alu instid0(VALU_DEP_1) | instskip(NEXT) | instid1(VALU_DEP_1)
	v_add3_u32 v100, v113, v101, v100
	v_sub_nc_u32_e32 v9, v9, v100
	s_delay_alu instid0(VALU_DEP_1)
	v_cmp_lt_i32_e32 vcc_lo, 3, v9
	s_and_b32 exec_lo, exec_lo, vcc_lo
	s_cbranch_execz .LBB2_1117
; %bb.1115:                             ;   in Loop: Header=BB2_1021 Depth=2
	v_add_nc_u32_e32 v100, v100, v112
	s_mov_b32 s40, 0
	s_delay_alu instid0(VALU_DEP_1)
	v_ashrrev_i32_e32 v101, 31, v100
.LBB2_1116:                             ;   Parent Loop BB2_47 Depth=1
                                        ;     Parent Loop BB2_1021 Depth=2
                                        ; =>    This Inner Loop Header: Depth=3
	s_delay_alu instid0(VALU_DEP_1) | instskip(SKIP_1) | instid1(VALU_DEP_1)
	v_add_nc_u64_e32 v[112:113], v[96:97], v[100:101]
	v_sub_nc_u32_e32 v9, v9, v64
	v_cmp_gt_i32_e32 vcc_lo, 4, v9
	flat_load_b32 v114, v[112:113] th:TH_LOAD_NT
	s_wait_xcnt 0x0
	v_add_nc_u64_e32 v[112:113], v[98:99], v[100:101]
	v_add_nc_u64_e32 v[100:101], v[100:101], v[64:65]
	s_or_b32 s40, vcc_lo, s40
	s_wait_loadcnt_dscnt 0x0
	flat_store_b32 v[112:113], v114 th:TH_STORE_NT
	s_wait_xcnt 0x0
	s_and_not1_b32 exec_lo, exec_lo, s40
	s_cbranch_execnz .LBB2_1116
.LBB2_1117:                             ;   in Loop: Header=BB2_1021 Depth=2
	s_or_b32 exec_lo, exec_lo, s13
	v_cmp_lt_i32_e64 s13, 0, v2
	s_and_saveexec_b32 s40, s2
	s_cbranch_execz .LBB2_1092
.LBB2_1118:                             ;   in Loop: Header=BB2_1021 Depth=2
	s_and_saveexec_b32 s41, s3
	s_delay_alu instid0(SALU_CYCLE_1)
	s_xor_b32 s41, exec_lo, s41
	s_cbranch_execz .LBB2_1133
; %bb.1119:                             ;   in Loop: Header=BB2_1021 Depth=2
	s_and_saveexec_b32 s60, s6
	s_cbranch_execz .LBB2_1132
; %bb.1120:                             ;   in Loop: Header=BB2_1021 Depth=2
	s_mov_b32 s62, exec_lo
	s_mov_b32 s61, exec_lo
	v_mbcnt_lo_u32_b32 v2, s62, 0
	global_wb scope:SCOPE_DEV
	s_wait_storecnt 0x0
	s_wait_loadcnt_dscnt 0x0
	global_inv scope:SCOPE_DEV
	v_cmpx_eq_u32_e32 0, v2
	s_cbranch_execz .LBB2_1122
; %bb.1121:                             ;   in Loop: Header=BB2_1021 Depth=2
	s_bcnt1_i32_b32 s62, s62
	s_delay_alu instid0(SALU_CYCLE_1)
	v_mov_b32_e32 v2, s62
	s_wait_loadcnt 0x0
	ds_add_u64 v0, v[2:3]
	s_trap 2
.LBB2_1122:                             ;   in Loop: Header=BB2_1021 Depth=2
	s_or_b32 exec_lo, exec_lo, s61
	s_trap 2
	ds_load_b64 v[96:97], v0
	s_wait_dscnt 0x0
	v_add_nc_u64_e32 v[12:13], v[12:13], v[32:33]
	s_mov_b32 s61, exec_lo
	s_delay_alu instid0(VALU_DEP_1)
	v_cmpx_lt_u64_e64 v[96:97], v[12:13]
	s_cbranch_execz .LBB2_1131
; %bb.1123:                             ;   in Loop: Header=BB2_1021 Depth=2
	s_mov_b32 s62, 0
	s_mov_b32 s73, 0
                                        ; implicit-def: $sgpr63
                                        ; implicit-def: $sgpr72
	s_branch .LBB2_1125
.LBB2_1124:                             ;   in Loop: Header=BB2_1125 Depth=3
	s_or_b32 exec_lo, exec_lo, s75
	s_delay_alu instid0(SALU_CYCLE_1) | instskip(NEXT) | instid1(SALU_CYCLE_1)
	s_and_b32 s74, exec_lo, s76
	s_or_b32 s62, s74, s62
	s_and_not1_b32 s63, s63, exec_lo
	s_and_b32 s74, s72, exec_lo
	s_delay_alu instid0(SALU_CYCLE_1)
	s_or_b32 s63, s63, s74
	s_and_not1_b32 exec_lo, exec_lo, s62
	s_cbranch_execz .LBB2_1129
.LBB2_1125:                             ;   Parent Loop BB2_47 Depth=1
                                        ;     Parent Loop BB2_1021 Depth=2
                                        ; =>    This Inner Loop Header: Depth=3
	s_add_co_i32 s73, s73, 1
	s_delay_alu instid0(SALU_CYCLE_1) | instskip(SKIP_1) | instid1(SALU_CYCLE_1)
	s_cmp_lg_u32 s73, 0x2710
	s_cselect_b32 s74, -1, 0
	s_and_b32 vcc_lo, exec_lo, s74
	s_cbranch_vccz .LBB2_1127
; %bb.1126:                             ;   in Loop: Header=BB2_1125 Depth=3
	s_mov_b32 s76, -1
	s_or_b32 s72, s72, exec_lo
	s_and_saveexec_b32 s75, s74
	s_cbranch_execz .LBB2_1124
	s_branch .LBB2_1128
.LBB2_1127:                             ;   in Loop: Header=BB2_1125 Depth=3
	s_trap 2
	ds_load_b64 v[96:97], v0
	s_and_not1_b32 s74, s74, exec_lo
	s_mov_b32 s73, 0
	s_wait_loadcnt_dscnt 0x0
	flat_load_b32 v2, v[96:97] scope:SCOPE_SYS
	s_wait_loadcnt_dscnt 0x0
	global_inv scope:SCOPE_SYS
	v_cmp_eq_u32_e32 vcc_lo, 0, v2
	s_and_b32 s75, vcc_lo, exec_lo
	s_delay_alu instid0(SALU_CYCLE_1)
	s_or_b32 s74, s74, s75
	s_mov_b32 s76, -1
	s_or_b32 s72, s72, exec_lo
	s_and_saveexec_b32 s75, s74
	s_cbranch_execz .LBB2_1124
.LBB2_1128:                             ;   in Loop: Header=BB2_1125 Depth=3
	s_sleep 1
	s_trap 2
	ds_load_b64 v[96:97], v0
	s_wait_dscnt 0x0
	s_and_not1_b32 s72, s72, exec_lo
	v_cmp_ge_u64_e32 vcc_lo, v[96:97], v[12:13]
	s_or_not1_b32 s76, vcc_lo, exec_lo
	s_branch .LBB2_1124
.LBB2_1129:                             ;   in Loop: Header=BB2_1021 Depth=2
	s_or_b32 exec_lo, exec_lo, s62
	s_and_saveexec_b32 s62, s63
	s_delay_alu instid0(SALU_CYCLE_1)
	s_xor_b32 s62, exec_lo, s62
	s_cbranch_execz .LBB2_1131
; %bb.1130:                             ;   in Loop: Header=BB2_1021 Depth=2
	ds_store_b32 v0, v57
	s_trap 2
.LBB2_1131:                             ;   in Loop: Header=BB2_1021 Depth=2
	s_or_b32 exec_lo, exec_lo, s61
	;;#ASMSTART
	s_wakeup
	;;#ASMEND
.LBB2_1132:                             ;   in Loop: Header=BB2_1021 Depth=2
	s_or_b32 exec_lo, exec_lo, s60
.LBB2_1133:                             ;   in Loop: Header=BB2_1021 Depth=2
	s_and_not1_saveexec_b32 s41, s41
	s_cbranch_execz .LBB2_1135
; %bb.1134:                             ;   in Loop: Header=BB2_1021 Depth=2
	global_wb scope:SCOPE_DEV
	s_wait_storecnt 0x0
	s_wait_loadcnt_dscnt 0x0
	global_inv scope:SCOPE_DEV
	s_barrier_signal -1
	s_barrier_wait -1
.LBB2_1135:                             ;   in Loop: Header=BB2_1021 Depth=2
	s_or_b32 exec_lo, exec_lo, s41
	s_delay_alu instid0(SALU_CYCLE_1) | instskip(SKIP_1) | instid1(SALU_CYCLE_1)
	s_or_b32 exec_lo, exec_lo, s40
	s_and_saveexec_b32 s40, s7
	s_xor_b32 s40, exec_lo, s40
	s_cbranch_execnz .LBB2_1093
.LBB2_1136:                             ;   in Loop: Header=BB2_1021 Depth=2
	s_and_not1_saveexec_b32 s13, s40
	s_cbranch_execz .LBB2_1155
.LBB2_1137:                             ;   in Loop: Header=BB2_1021 Depth=2
	s_and_saveexec_b32 s40, s3
	s_delay_alu instid0(SALU_CYCLE_1)
	s_xor_b32 s40, exec_lo, s40
	s_cbranch_execz .LBB2_1152
; %bb.1138:                             ;   in Loop: Header=BB2_1021 Depth=2
	s_and_saveexec_b32 s41, s6
	s_cbranch_execz .LBB2_1151
; %bb.1139:                             ;   in Loop: Header=BB2_1021 Depth=2
	s_mov_b32 s61, exec_lo
	s_mov_b32 s60, exec_lo
	v_mbcnt_lo_u32_b32 v2, s61, 0
	;;#ASMSTART
	s_waitcnt lgkmcnt(0) vmcnt(0)
	;;#ASMEND
	s_delay_alu instid0(VALU_DEP_1)
	v_cmpx_eq_u32_e32 0, v2
	s_cbranch_execz .LBB2_1141
; %bb.1140:                             ;   in Loop: Header=BB2_1021 Depth=2
	s_bcnt1_i32_b32 s61, s61
	s_delay_alu instid0(SALU_CYCLE_1)
	v_mov_b32_e32 v2, s61
	s_wait_storecnt 0x0
	s_wait_loadcnt_dscnt 0x0
	ds_add_u64 v0, v[2:3]
	s_trap 2
.LBB2_1141:                             ;   in Loop: Header=BB2_1021 Depth=2
	s_or_b32 exec_lo, exec_lo, s60
	s_trap 2
	ds_load_b64 v[96:97], v0
	s_wait_dscnt 0x0
	v_add_nc_u64_e32 v[12:13], v[12:13], v[32:33]
	s_mov_b32 s60, exec_lo
	s_delay_alu instid0(VALU_DEP_1)
	v_cmpx_lt_u64_e64 v[96:97], v[12:13]
	s_cbranch_execz .LBB2_1150
; %bb.1142:                             ;   in Loop: Header=BB2_1021 Depth=2
	s_mov_b32 s61, 0
	s_mov_b32 s72, 0
                                        ; implicit-def: $sgpr62
                                        ; implicit-def: $sgpr63
	s_branch .LBB2_1144
.LBB2_1143:                             ;   in Loop: Header=BB2_1144 Depth=3
	s_or_b32 exec_lo, exec_lo, s74
	s_delay_alu instid0(SALU_CYCLE_1) | instskip(NEXT) | instid1(SALU_CYCLE_1)
	s_and_b32 s73, exec_lo, s75
	s_or_b32 s61, s73, s61
	s_and_not1_b32 s62, s62, exec_lo
	s_and_b32 s73, s63, exec_lo
	s_delay_alu instid0(SALU_CYCLE_1)
	s_or_b32 s62, s62, s73
	s_and_not1_b32 exec_lo, exec_lo, s61
	s_cbranch_execz .LBB2_1148
.LBB2_1144:                             ;   Parent Loop BB2_47 Depth=1
                                        ;     Parent Loop BB2_1021 Depth=2
                                        ; =>    This Inner Loop Header: Depth=3
	s_add_co_i32 s72, s72, 1
	s_delay_alu instid0(SALU_CYCLE_1) | instskip(SKIP_1) | instid1(SALU_CYCLE_1)
	s_cmp_lg_u32 s72, 0x2710
	s_cselect_b32 s73, -1, 0
	s_and_b32 vcc_lo, exec_lo, s73
	s_cbranch_vccz .LBB2_1146
; %bb.1145:                             ;   in Loop: Header=BB2_1144 Depth=3
	s_mov_b32 s75, -1
	s_or_b32 s63, s63, exec_lo
	s_and_saveexec_b32 s74, s73
	s_cbranch_execz .LBB2_1143
	s_branch .LBB2_1147
.LBB2_1146:                             ;   in Loop: Header=BB2_1144 Depth=3
	s_trap 2
	ds_load_b64 v[96:97], v0
	s_and_not1_b32 s73, s73, exec_lo
	s_mov_b32 s72, 0
	s_wait_storecnt 0x0
	s_wait_loadcnt_dscnt 0x0
	flat_load_b32 v2, v[96:97] scope:SCOPE_SYS
	s_wait_loadcnt_dscnt 0x0
	global_inv scope:SCOPE_SYS
	v_cmp_eq_u32_e32 vcc_lo, 0, v2
	s_and_b32 s74, vcc_lo, exec_lo
	s_delay_alu instid0(SALU_CYCLE_1)
	s_or_b32 s73, s73, s74
	s_mov_b32 s75, -1
	s_or_b32 s63, s63, exec_lo
	s_and_saveexec_b32 s74, s73
	s_cbranch_execz .LBB2_1143
.LBB2_1147:                             ;   in Loop: Header=BB2_1144 Depth=3
	s_sleep 1
	s_trap 2
	ds_load_b64 v[96:97], v0
	s_wait_dscnt 0x0
	s_and_not1_b32 s63, s63, exec_lo
	v_cmp_ge_u64_e32 vcc_lo, v[96:97], v[12:13]
	s_or_not1_b32 s75, vcc_lo, exec_lo
	s_branch .LBB2_1143
.LBB2_1148:                             ;   in Loop: Header=BB2_1021 Depth=2
	s_or_b32 exec_lo, exec_lo, s61
	s_and_saveexec_b32 s61, s62
	s_delay_alu instid0(SALU_CYCLE_1)
	s_xor_b32 s61, exec_lo, s61
	s_cbranch_execz .LBB2_1150
; %bb.1149:                             ;   in Loop: Header=BB2_1021 Depth=2
	ds_store_b32 v0, v57
	s_trap 2
.LBB2_1150:                             ;   in Loop: Header=BB2_1021 Depth=2
	s_or_b32 exec_lo, exec_lo, s60
	;;#ASMSTART
	s_wakeup
	;;#ASMEND
.LBB2_1151:                             ;   in Loop: Header=BB2_1021 Depth=2
	s_or_b32 exec_lo, exec_lo, s41
.LBB2_1152:                             ;   in Loop: Header=BB2_1021 Depth=2
	s_and_not1_saveexec_b32 s40, s40
	s_cbranch_execz .LBB2_1154
; %bb.1153:                             ;   in Loop: Header=BB2_1021 Depth=2
	;;#ASMSTART
	s_waitcnt lgkmcnt(0) vmcnt(0)
	;;#ASMEND
	s_barrier_signal -1
	s_barrier_wait -1
.LBB2_1154:                             ;   in Loop: Header=BB2_1021 Depth=2
	s_or_b32 exec_lo, exec_lo, s40
.LBB2_1155:                             ;   in Loop: Header=BB2_1021 Depth=2
	s_delay_alu instid0(SALU_CYCLE_1) | instskip(SKIP_2) | instid1(VALU_DEP_1)
	s_or_b32 exec_lo, exec_lo, s13
	v_and_b32_e32 v2, 32, v30
	s_mov_b32 s13, exec_lo
	v_cmpx_ne_u32_e32 0, v2
	s_cbranch_execz .LBB2_1020
; %bb.1156:                             ;   in Loop: Header=BB2_1021 Depth=2
	v_add_nc_u64_e32 v[86:87], 2, v[86:87]
	global_wb scope:SCOPE_SYS
	s_wait_storecnt 0x0
	s_wait_loadcnt_dscnt 0x0
	flat_store_b64 v[20:21], v[86:87] scope:SCOPE_SYS
	s_branch .LBB2_1020
.LBB2_1157:                             ;   in Loop: Header=BB2_47 Depth=1
	s_or_b32 exec_lo, exec_lo, s15
.LBB2_1158:                             ;   in Loop: Header=BB2_47 Depth=1
	s_delay_alu instid0(SALU_CYCLE_1) | instskip(NEXT) | instid1(SALU_CYCLE_1)
	s_or_b32 exec_lo, exec_lo, s14
	s_mov_b32 s14, exec_lo
	v_cmpx_gt_i32_e32 2, v2
	s_cbranch_execz .LBB2_46
; %bb.1159:                             ;   in Loop: Header=BB2_47 Depth=1
	v_cmp_eq_u32_e64 s18, 0, v2
	s_mov_b32 s15, 0
	s_branch .LBB2_1161
.LBB2_1160:                             ;   in Loop: Header=BB2_1161 Depth=2
	s_wait_xcnt 0x0
	s_or_b32 exec_lo, exec_lo, s13
	v_add_nc_u32_e32 v8, v103, v8
	s_mov_b32 s18, 0
	s_and_not1_b32 exec_lo, exec_lo, s15
	s_cbranch_execz .LBB2_45
.LBB2_1161:                             ;   Parent Loop BB2_47 Depth=1
                                        ; =>  This Loop Header: Depth=2
                                        ;       Child Loop BB2_1167 Depth 3
                                        ;       Child Loop BB2_1191 Depth 3
	;; [unrolled: 1-line block ×3, first 2 shown]
	v_and_b32_e32 v2, 4, v30
	s_mov_b32 s27, exec_lo
	s_delay_alu instid0(VALU_DEP_1)
	v_cmpx_ne_u32_e32 0, v2
	s_cbranch_execz .LBB2_1183
; %bb.1162:                             ;   in Loop: Header=BB2_1161 Depth=2
	v_add_nc_u64_e32 v[10:11], 2, v[86:87]
	s_mov_b32 s40, exec_lo
	s_wait_loadcnt_dscnt 0x1
	s_delay_alu instid0(VALU_DEP_1)
	v_cmpx_lt_u64_e64 v[28:29], v[10:11]
	s_cbranch_execz .LBB2_1174
; %bb.1163:                             ;   in Loop: Header=BB2_1161 Depth=2
	v_and_b32_e32 v2, 64, v30
	s_mov_b32 s41, 0
	s_mov_b32 s63, 0
                                        ; implicit-def: $sgpr60
                                        ; implicit-def: $sgpr61
                                        ; implicit-def: $sgpr62
	s_delay_alu instid0(VALU_DEP_1)
	v_cmp_eq_u32_e32 vcc_lo, 0, v2
	s_branch .LBB2_1167
.LBB2_1164:                             ;   in Loop: Header=BB2_1167 Depth=3
	s_wait_loadcnt_dscnt 0x0
	v_cmp_ge_u64_e64 s13, v[28:29], v[10:11]
	s_or_b32 s74, s74, exec_lo
	s_or_not1_b32 s73, s13, exec_lo
.LBB2_1165:                             ;   in Loop: Header=BB2_1167 Depth=3
	s_or_b32 exec_lo, exec_lo, s76
	s_delay_alu instid0(SALU_CYCLE_1)
	s_and_not1_b32 s13, s62, exec_lo
	s_and_b32 s62, s74, exec_lo
	s_and_not1_b32 s61, s61, exec_lo
	s_and_b32 s73, s73, exec_lo
	s_or_b32 s62, s13, s62
	s_or_b32 s61, s61, s73
.LBB2_1166:                             ;   in Loop: Header=BB2_1167 Depth=3
	s_or_b32 exec_lo, exec_lo, s72
	s_delay_alu instid0(SALU_CYCLE_1) | instskip(NEXT) | instid1(SALU_CYCLE_1)
	s_and_b32 s13, exec_lo, s61
	s_or_b32 s41, s13, s41
	s_and_not1_b32 s13, s60, exec_lo
	s_and_b32 s60, s62, exec_lo
	s_delay_alu instid0(SALU_CYCLE_1)
	s_or_b32 s60, s13, s60
	s_and_not1_b32 exec_lo, exec_lo, s41
	s_cbranch_execz .LBB2_1171
.LBB2_1167:                             ;   Parent Loop BB2_47 Depth=1
                                        ;     Parent Loop BB2_1161 Depth=2
                                        ; =>    This Inner Loop Header: Depth=3
	s_sleep 1
	s_wait_loadcnt_dscnt 0x0
	flat_load_b64 v[28:29], v[20:21] scope:SCOPE_SYS
	s_or_b32 s62, s62, exec_lo
	s_or_b32 s61, s61, exec_lo
                                        ; implicit-def: $vgpr2
	s_wait_xcnt 0x0
	s_and_saveexec_b32 s72, vcc_lo
	s_cbranch_execz .LBB2_1166
; %bb.1168:                             ;   in Loop: Header=BB2_1167 Depth=3
	s_cmp_lt_i32 s63, 0x270f
	s_mov_b32 s73, -1
	s_cselect_b32 s75, -1, 0
	s_cmp_gt_i32 s63, 0x270e
	s_cbranch_scc0 .LBB2_1170
; %bb.1169:                             ;   in Loop: Header=BB2_1167 Depth=3
	s_trap 2
	ds_load_b64 v[96:97], v0
	s_and_not1_b32 s63, s75, exec_lo
	s_mov_b32 s74, 0
	s_wait_storecnt 0x0
	s_wait_loadcnt_dscnt 0x0
	flat_load_b32 v2, v[96:97] scope:SCOPE_SYS
	s_wait_loadcnt_dscnt 0x0
	global_inv scope:SCOPE_SYS
	v_cmp_eq_u32_e64 s13, 0, v2
	s_and_b32 s13, s13, exec_lo
	s_delay_alu instid0(SALU_CYCLE_1)
	s_or_b32 s75, s63, s13
	s_mov_b32 s63, 0
	s_and_saveexec_b32 s76, s75
	s_cbranch_execz .LBB2_1165
	s_branch .LBB2_1164
.LBB2_1170:                             ;   in Loop: Header=BB2_1167 Depth=3
	s_add_co_i32 s63, s63, 1
	s_mov_b32 s74, -1
                                        ; implicit-def: $vgpr2
	s_and_saveexec_b32 s76, s75
	s_cbranch_execz .LBB2_1165
	s_branch .LBB2_1164
.LBB2_1171:                             ;   in Loop: Header=BB2_1161 Depth=2
	s_or_b32 exec_lo, exec_lo, s41
	s_xor_b32 s13, s60, -1
	s_delay_alu instid0(SALU_CYCLE_1) | instskip(NEXT) | instid1(SALU_CYCLE_1)
	s_and_saveexec_b32 s41, s13
	s_xor_b32 s13, exec_lo, s41
	s_cbranch_execz .LBB2_1173
; %bb.1172:                             ;   in Loop: Header=BB2_1161 Depth=2
	v_or_b32_e32 v30, 64, v30
	s_wait_storecnt 0x0
	s_wait_loadcnt_dscnt 0x0
	ds_store_b32 v0, v2
	s_trap 2
.LBB2_1173:                             ;   in Loop: Header=BB2_1161 Depth=2
	s_or_b32 exec_lo, exec_lo, s13
.LBB2_1174:                             ;   in Loop: Header=BB2_1161 Depth=2
	s_delay_alu instid0(SALU_CYCLE_1) | instskip(SKIP_3) | instid1(VALU_DEP_1)
	s_or_b32 exec_lo, exec_lo, s40
	v_and_b32_e32 v2, 0x100, v30
	s_mov_b32 s13, -1
	;;#ASMSTART
	s_wakeup
	;;#ASMEND
	v_cmp_ne_u32_e32 vcc_lo, 0, v2
	v_and_b32_e32 v2, 7, v86
                                        ; implicit-def: $vgpr86_vgpr87
	s_and_saveexec_b32 s40, vcc_lo
	s_cbranch_execz .LBB2_1178
; %bb.1175:                             ;   in Loop: Header=BB2_1161 Depth=2
	s_delay_alu instid0(VALU_DEP_1)
	v_mad_nc_u64_u32 v[96:97], v2, 24, v[6:7]
	s_mov_b32 s41, exec_lo
                                        ; implicit-def: $vgpr86_vgpr87
	flat_load_b32 v9, v[96:97]
	s_wait_loadcnt_dscnt 0x0
	v_cmp_ne_u32_e32 vcc_lo, 1, v9
	s_wait_xcnt 0x0
	v_cmpx_eq_u32_e32 1, v9
	s_cbranch_execz .LBB2_1177
; %bb.1176:                             ;   in Loop: Header=BB2_1161 Depth=2
	flat_load_b32 v86, v[96:97] offset:4 scope:SCOPE_SYS
	s_wait_loadcnt_dscnt 0x0
	v_ashrrev_i32_e32 v87, 31, v86
	s_delay_alu instid0(VALU_DEP_1)
	v_lshrrev_b64 v[86:87], 2, v[86:87]
.LBB2_1177:                             ;   in Loop: Header=BB2_1161 Depth=2
	s_wait_xcnt 0x0
	s_or_b32 exec_lo, exec_lo, s41
	s_delay_alu instid0(SALU_CYCLE_1)
	s_or_not1_b32 s13, vcc_lo, exec_lo
.LBB2_1178:                             ;   in Loop: Header=BB2_1161 Depth=2
	s_or_b32 exec_lo, exec_lo, s40
	s_and_saveexec_b32 s40, s13
; %bb.1179:                             ;   in Loop: Header=BB2_1161 Depth=2
	v_mul_u64_e32 v[86:87], v[2:3], v[22:23]
; %bb.1180:                             ;   in Loop: Header=BB2_1161 Depth=2
	s_or_b32 exec_lo, exec_lo, s40
	v_and_b32_e32 v2, 0x2000, v30
	s_delay_alu instid0(VALU_DEP_2)
	v_lshl_add_u64 v[86:87], v[86:87], 2, v[24:25]
	s_mov_b32 s13, exec_lo
	ds_store_b64 v0, v[86:87] offset:720
	v_cmpx_ne_u32_e32 0, v2
	s_cbranch_execz .LBB2_1182
; %bb.1181:                             ;   in Loop: Header=BB2_1161 Depth=2
	ds_load_b64 v[86:87], v0 offset:872
	s_wait_dscnt 0x0
	v_add_nc_u64_e32 v[86:87], 1, v[86:87]
	ds_store_b64 v0, v[86:87] offset:872
.LBB2_1182:                             ;   in Loop: Header=BB2_1161 Depth=2
	s_or_b32 exec_lo, exec_lo, s13
	v_mov_b64_e32 v[86:87], v[10:11]
.LBB2_1183:                             ;   in Loop: Header=BB2_1161 Depth=2
	s_or_b32 exec_lo, exec_lo, s27
	s_xor_b32 s13, s18, -1
	s_delay_alu instid0(SALU_CYCLE_1) | instskip(NEXT) | instid1(SALU_CYCLE_1)
	s_and_b32 s13, exec_lo, s13
	s_or_b32 s15, s13, s15
	s_and_saveexec_b32 s13, s2
	s_cbranch_execz .LBB2_1202
; %bb.1184:                             ;   in Loop: Header=BB2_1161 Depth=2
	s_and_saveexec_b32 s18, s3
	s_delay_alu instid0(SALU_CYCLE_1)
	s_xor_b32 s18, exec_lo, s18
	s_cbranch_execz .LBB2_1199
; %bb.1185:                             ;   in Loop: Header=BB2_1161 Depth=2
	s_and_saveexec_b32 s27, s6
	s_cbranch_execz .LBB2_1198
; %bb.1186:                             ;   in Loop: Header=BB2_1161 Depth=2
	s_mov_b32 s41, exec_lo
	s_mov_b32 s40, exec_lo
	v_mbcnt_lo_u32_b32 v2, s41, 0
	global_wb scope:SCOPE_DEV
	s_wait_storecnt 0x0
	s_wait_loadcnt_dscnt 0x0
	global_inv scope:SCOPE_DEV
	v_cmpx_eq_u32_e32 0, v2
	s_cbranch_execz .LBB2_1188
; %bb.1187:                             ;   in Loop: Header=BB2_1161 Depth=2
	s_bcnt1_i32_b32 s41, s41
	s_delay_alu instid0(SALU_CYCLE_1)
	v_mov_b32_e32 v2, s41
	s_wait_loadcnt 0x0
	ds_add_u64 v0, v[2:3]
	s_trap 2
.LBB2_1188:                             ;   in Loop: Header=BB2_1161 Depth=2
	s_or_b32 exec_lo, exec_lo, s40
	s_trap 2
	ds_load_b64 v[10:11], v0
	s_wait_dscnt 0x0
	v_add_nc_u64_e32 v[12:13], v[12:13], v[32:33]
	s_mov_b32 s40, exec_lo
	s_delay_alu instid0(VALU_DEP_1)
	v_cmpx_lt_u64_e64 v[10:11], v[12:13]
	s_cbranch_execz .LBB2_1197
; %bb.1189:                             ;   in Loop: Header=BB2_1161 Depth=2
	s_mov_b32 s41, 0
	s_mov_b32 s62, 0
                                        ; implicit-def: $sgpr60
                                        ; implicit-def: $sgpr61
	s_branch .LBB2_1191
.LBB2_1190:                             ;   in Loop: Header=BB2_1191 Depth=3
	s_or_b32 exec_lo, exec_lo, s72
	s_delay_alu instid0(SALU_CYCLE_1) | instskip(NEXT) | instid1(SALU_CYCLE_1)
	s_and_b32 s63, exec_lo, s73
	s_or_b32 s41, s63, s41
	s_and_not1_b32 s60, s60, exec_lo
	s_and_b32 s63, s61, exec_lo
	s_delay_alu instid0(SALU_CYCLE_1)
	s_or_b32 s60, s60, s63
	s_and_not1_b32 exec_lo, exec_lo, s41
	s_cbranch_execz .LBB2_1195
.LBB2_1191:                             ;   Parent Loop BB2_47 Depth=1
                                        ;     Parent Loop BB2_1161 Depth=2
                                        ; =>    This Inner Loop Header: Depth=3
	s_add_co_i32 s62, s62, 1
	s_delay_alu instid0(SALU_CYCLE_1) | instskip(SKIP_1) | instid1(SALU_CYCLE_1)
	s_cmp_lg_u32 s62, 0x2710
	s_cselect_b32 s63, -1, 0
	s_and_b32 vcc_lo, exec_lo, s63
	s_cbranch_vccz .LBB2_1193
; %bb.1192:                             ;   in Loop: Header=BB2_1191 Depth=3
	s_mov_b32 s73, -1
	s_or_b32 s61, s61, exec_lo
	s_and_saveexec_b32 s72, s63
	s_cbranch_execz .LBB2_1190
	s_branch .LBB2_1194
.LBB2_1193:                             ;   in Loop: Header=BB2_1191 Depth=3
	s_trap 2
	ds_load_b64 v[10:11], v0
	s_and_not1_b32 s63, s63, exec_lo
	s_mov_b32 s62, 0
	s_wait_loadcnt_dscnt 0x0
	flat_load_b32 v2, v[10:11] scope:SCOPE_SYS
	s_wait_loadcnt_dscnt 0x0
	global_inv scope:SCOPE_SYS
	v_cmp_eq_u32_e32 vcc_lo, 0, v2
	s_and_b32 s72, vcc_lo, exec_lo
	s_delay_alu instid0(SALU_CYCLE_1)
	s_or_b32 s63, s63, s72
	s_mov_b32 s73, -1
	s_or_b32 s61, s61, exec_lo
	s_and_saveexec_b32 s72, s63
	s_cbranch_execz .LBB2_1190
.LBB2_1194:                             ;   in Loop: Header=BB2_1191 Depth=3
	s_sleep 1
	s_trap 2
	ds_load_b64 v[10:11], v0
	s_wait_dscnt 0x0
	s_and_not1_b32 s61, s61, exec_lo
	v_cmp_ge_u64_e32 vcc_lo, v[10:11], v[12:13]
	s_or_not1_b32 s73, vcc_lo, exec_lo
	s_branch .LBB2_1190
.LBB2_1195:                             ;   in Loop: Header=BB2_1161 Depth=2
	s_or_b32 exec_lo, exec_lo, s41
	s_and_saveexec_b32 s41, s60
	s_delay_alu instid0(SALU_CYCLE_1)
	s_xor_b32 s41, exec_lo, s41
	s_cbranch_execz .LBB2_1197
; %bb.1196:                             ;   in Loop: Header=BB2_1161 Depth=2
	ds_store_b32 v0, v57
	s_trap 2
.LBB2_1197:                             ;   in Loop: Header=BB2_1161 Depth=2
	s_or_b32 exec_lo, exec_lo, s40
	;;#ASMSTART
	s_wakeup
	;;#ASMEND
.LBB2_1198:                             ;   in Loop: Header=BB2_1161 Depth=2
	s_or_b32 exec_lo, exec_lo, s27
.LBB2_1199:                             ;   in Loop: Header=BB2_1161 Depth=2
	s_and_not1_saveexec_b32 s18, s18
	s_cbranch_execz .LBB2_1201
; %bb.1200:                             ;   in Loop: Header=BB2_1161 Depth=2
	global_wb scope:SCOPE_DEV
	s_wait_storecnt 0x0
	s_wait_loadcnt_dscnt 0x0
	global_inv scope:SCOPE_DEV
	s_barrier_signal -1
	s_barrier_wait -1
.LBB2_1201:                             ;   in Loop: Header=BB2_1161 Depth=2
	s_or_b32 exec_lo, exec_lo, s18
.LBB2_1202:                             ;   in Loop: Header=BB2_1161 Depth=2
	s_delay_alu instid0(SALU_CYCLE_1) | instskip(SKIP_1) | instid1(VALU_DEP_1)
	s_or_b32 exec_lo, exec_lo, s13
	v_sub_nc_u32_e32 v2, v102, v8
	v_min_i32_e32 v103, v103, v2
	s_and_saveexec_b32 s13, s7
	s_delay_alu instid0(SALU_CYCLE_1)
	s_xor_b32 s18, exec_lo, s13
	s_cbranch_execz .LBB2_1206
; %bb.1203:                             ;   in Loop: Header=BB2_1161 Depth=2
	s_trap 2
	ds_load_b32 v2, v0
	v_cmp_lt_i32_e32 vcc_lo, 0, v103
	s_wait_dscnt 0x0
	v_readfirstlane_b32 s13, v2
	v_and_b32_e32 v2, 16, v30
	s_cmp_eq_u32 s13, 0
	s_delay_alu instid0(VALU_DEP_1) | instskip(SKIP_1) | instid1(SALU_CYCLE_1)
	v_cmp_ne_u32_e64 s13, 0, v2
	s_cselect_b32 s27, -1, 0
	s_and_b32 s27, vcc_lo, s27
	s_delay_alu instid0(SALU_CYCLE_1) | instskip(NEXT) | instid1(SALU_CYCLE_1)
	s_and_b32 s27, s13, s27
	s_and_saveexec_b32 s13, s27
	s_cbranch_execz .LBB2_1205
; %bb.1204:                             ;   in Loop: Header=BB2_1161 Depth=2
	global_wb scope:SCOPE_SYS
	s_wait_loadcnt 0x0
	s_wait_storecnt 0x0
	global_inv scope:SCOPE_SYS
.LBB2_1205:                             ;   in Loop: Header=BB2_1161 Depth=2
	s_or_b32 exec_lo, exec_lo, s13
.LBB2_1206:                             ;   in Loop: Header=BB2_1161 Depth=2
	s_and_not1_saveexec_b32 s13, s18
	s_cbranch_execz .LBB2_1225
; %bb.1207:                             ;   in Loop: Header=BB2_1161 Depth=2
	s_and_saveexec_b32 s18, s3
	s_delay_alu instid0(SALU_CYCLE_1)
	s_xor_b32 s18, exec_lo, s18
	s_cbranch_execz .LBB2_1222
; %bb.1208:                             ;   in Loop: Header=BB2_1161 Depth=2
	s_and_saveexec_b32 s27, s6
	s_cbranch_execz .LBB2_1221
; %bb.1209:                             ;   in Loop: Header=BB2_1161 Depth=2
	s_mov_b32 s41, exec_lo
	s_mov_b32 s40, exec_lo
	v_mbcnt_lo_u32_b32 v2, s41, 0
	;;#ASMSTART
	s_waitcnt lgkmcnt(0) vmcnt(0)
	;;#ASMEND
	s_delay_alu instid0(VALU_DEP_1)
	v_cmpx_eq_u32_e32 0, v2
	s_cbranch_execz .LBB2_1211
; %bb.1210:                             ;   in Loop: Header=BB2_1161 Depth=2
	s_bcnt1_i32_b32 s41, s41
	s_delay_alu instid0(SALU_CYCLE_1)
	v_mov_b32_e32 v2, s41
	s_wait_storecnt 0x0
	s_wait_loadcnt_dscnt 0x0
	ds_add_u64 v0, v[2:3]
	s_trap 2
.LBB2_1211:                             ;   in Loop: Header=BB2_1161 Depth=2
	s_or_b32 exec_lo, exec_lo, s40
	s_trap 2
	ds_load_b64 v[10:11], v0
	s_wait_dscnt 0x0
	v_add_nc_u64_e32 v[12:13], v[12:13], v[32:33]
	s_mov_b32 s40, exec_lo
	s_delay_alu instid0(VALU_DEP_1)
	v_cmpx_lt_u64_e64 v[10:11], v[12:13]
	s_cbranch_execz .LBB2_1220
; %bb.1212:                             ;   in Loop: Header=BB2_1161 Depth=2
	s_mov_b32 s41, 0
	s_mov_b32 s62, 0
                                        ; implicit-def: $sgpr60
                                        ; implicit-def: $sgpr61
	s_branch .LBB2_1214
.LBB2_1213:                             ;   in Loop: Header=BB2_1214 Depth=3
	s_or_b32 exec_lo, exec_lo, s72
	s_delay_alu instid0(SALU_CYCLE_1) | instskip(NEXT) | instid1(SALU_CYCLE_1)
	s_and_b32 s63, exec_lo, s73
	s_or_b32 s41, s63, s41
	s_and_not1_b32 s60, s60, exec_lo
	s_and_b32 s63, s61, exec_lo
	s_delay_alu instid0(SALU_CYCLE_1)
	s_or_b32 s60, s60, s63
	s_and_not1_b32 exec_lo, exec_lo, s41
	s_cbranch_execz .LBB2_1218
.LBB2_1214:                             ;   Parent Loop BB2_47 Depth=1
                                        ;     Parent Loop BB2_1161 Depth=2
                                        ; =>    This Inner Loop Header: Depth=3
	s_add_co_i32 s62, s62, 1
	s_delay_alu instid0(SALU_CYCLE_1) | instskip(SKIP_1) | instid1(SALU_CYCLE_1)
	s_cmp_lg_u32 s62, 0x2710
	s_cselect_b32 s63, -1, 0
	s_and_b32 vcc_lo, exec_lo, s63
	s_cbranch_vccz .LBB2_1216
; %bb.1215:                             ;   in Loop: Header=BB2_1214 Depth=3
	s_mov_b32 s73, -1
	s_or_b32 s61, s61, exec_lo
	s_and_saveexec_b32 s72, s63
	s_cbranch_execz .LBB2_1213
	s_branch .LBB2_1217
.LBB2_1216:                             ;   in Loop: Header=BB2_1214 Depth=3
	s_trap 2
	ds_load_b64 v[10:11], v0
	s_and_not1_b32 s63, s63, exec_lo
	s_mov_b32 s62, 0
	s_wait_storecnt 0x0
	s_wait_loadcnt_dscnt 0x0
	flat_load_b32 v2, v[10:11] scope:SCOPE_SYS
	s_wait_loadcnt_dscnt 0x0
	global_inv scope:SCOPE_SYS
	v_cmp_eq_u32_e32 vcc_lo, 0, v2
	s_and_b32 s72, vcc_lo, exec_lo
	s_delay_alu instid0(SALU_CYCLE_1)
	s_or_b32 s63, s63, s72
	s_mov_b32 s73, -1
	s_or_b32 s61, s61, exec_lo
	s_and_saveexec_b32 s72, s63
	s_cbranch_execz .LBB2_1213
.LBB2_1217:                             ;   in Loop: Header=BB2_1214 Depth=3
	s_sleep 1
	s_trap 2
	ds_load_b64 v[10:11], v0
	s_wait_dscnt 0x0
	s_and_not1_b32 s61, s61, exec_lo
	v_cmp_ge_u64_e32 vcc_lo, v[10:11], v[12:13]
	s_or_not1_b32 s73, vcc_lo, exec_lo
	s_branch .LBB2_1213
.LBB2_1218:                             ;   in Loop: Header=BB2_1161 Depth=2
	s_or_b32 exec_lo, exec_lo, s41
	s_and_saveexec_b32 s41, s60
	s_delay_alu instid0(SALU_CYCLE_1)
	s_xor_b32 s41, exec_lo, s41
	s_cbranch_execz .LBB2_1220
; %bb.1219:                             ;   in Loop: Header=BB2_1161 Depth=2
	ds_store_b32 v0, v57
	s_trap 2
.LBB2_1220:                             ;   in Loop: Header=BB2_1161 Depth=2
	s_or_b32 exec_lo, exec_lo, s40
	;;#ASMSTART
	s_wakeup
	;;#ASMEND
.LBB2_1221:                             ;   in Loop: Header=BB2_1161 Depth=2
	s_or_b32 exec_lo, exec_lo, s27
.LBB2_1222:                             ;   in Loop: Header=BB2_1161 Depth=2
	s_and_not1_saveexec_b32 s18, s18
	s_cbranch_execz .LBB2_1224
; %bb.1223:                             ;   in Loop: Header=BB2_1161 Depth=2
	;;#ASMSTART
	s_waitcnt lgkmcnt(0) vmcnt(0)
	;;#ASMEND
	s_barrier_signal -1
	s_barrier_wait -1
.LBB2_1224:                             ;   in Loop: Header=BB2_1161 Depth=2
	s_or_b32 exec_lo, exec_lo, s18
.LBB2_1225:                             ;   in Loop: Header=BB2_1161 Depth=2
	s_delay_alu instid0(SALU_CYCLE_1) | instskip(SKIP_2) | instid1(VALU_DEP_1)
	s_or_b32 exec_lo, exec_lo, s13
	v_and_b32_e32 v2, 32, v30
	s_mov_b32 s13, exec_lo
	v_cmpx_ne_u32_e32 0, v2
	s_cbranch_execz .LBB2_1160
; %bb.1226:                             ;   in Loop: Header=BB2_1161 Depth=2
	v_add_nc_u64_e32 v[86:87], 2, v[86:87]
	global_wb scope:SCOPE_SYS
	s_wait_storecnt 0x0
	s_wait_loadcnt_dscnt 0x0
	flat_store_b64 v[20:21], v[86:87] scope:SCOPE_SYS
	s_branch .LBB2_1160
.LBB2_1227:
	s_or_b32 exec_lo, exec_lo, s59
.LBB2_1228:
	s_delay_alu instid0(SALU_CYCLE_1) | instskip(SKIP_2) | instid1(VALU_DEP_1)
	s_or_b32 exec_lo, exec_lo, s43
	v_and_b32_e32 v0, 0x800, v30
	s_mov_b32 s1, exec_lo
	v_cmpx_eq_u32_e32 0, v0
	s_cbranch_execz .LBB2_1261
; %bb.1229:
	v_and_b32_e32 v0, 48, v30
	s_mov_b32 s0, exec_lo
	s_delay_alu instid0(VALU_DEP_1)
	v_cmpx_ne_u32_e32 0, v0
	s_cbranch_execz .LBB2_1231
; %bb.1230:
	flat_store_b64 v[18:19], v[86:87] offset:104
.LBB2_1231:
	s_wait_xcnt 0x0
	s_or_b32 exec_lo, exec_lo, s0
	v_and_b32_e32 v0, 0x88, v30
	s_mov_b32 s2, exec_lo
	s_delay_alu instid0(VALU_DEP_1)
	v_cmpx_eq_u32_e32 0x88, v0
	s_cbranch_execz .LBB2_1241
; %bb.1232:
	v_add_nc_u32_e32 v0, 6, v86
	s_mov_b32 s3, 0
	s_delay_alu instid0(VALU_DEP_1) | instskip(NEXT) | instid1(VALU_DEP_1)
	v_and_b32_e32 v0, 7, v0
	v_mad_nc_u64_u32 v[2:3], v0, 24, v[6:7]
	v_and_b32_e32 v0, 64, v30
	s_delay_alu instid0(VALU_DEP_1)
	v_cmp_eq_u32_e64 s0, 0, v0
	flat_load_b64 v[4:5], v[2:3] offset:8 scope:SCOPE_SYS
	s_wait_loadcnt_dscnt 0x0
	v_cmp_ne_u64_e32 vcc_lo, -1, v[4:5]
	s_and_b32 s0, vcc_lo, s0
	s_wait_xcnt 0x0
	s_and_b32 exec_lo, exec_lo, s0
	s_cbranch_execz .LBB2_1241
; %bb.1233:
	s_mov_b32 s5, 0
                                        ; implicit-def: $sgpr0
                                        ; implicit-def: $sgpr4
	s_branch .LBB2_1236
.LBB2_1234:                             ;   in Loop: Header=BB2_1236 Depth=1
	flat_load_b64 v[4:5], v[2:3] offset:8 scope:SCOPE_SYS
	s_wait_loadcnt 0x0
	s_and_not1_b32 s4, s4, exec_lo
	s_wait_dscnt 0x0
	v_cmp_eq_u64_e32 vcc_lo, -1, v[4:5]
	s_or_not1_b32 s7, vcc_lo, exec_lo
.LBB2_1235:                             ;   in Loop: Header=BB2_1236 Depth=1
	s_wait_xcnt 0x0
	s_or_b32 exec_lo, exec_lo, s10
	s_delay_alu instid0(SALU_CYCLE_1) | instskip(NEXT) | instid1(SALU_CYCLE_1)
	s_and_b32 s6, exec_lo, s7
	s_or_b32 s3, s6, s3
	s_and_not1_b32 s0, s0, exec_lo
	s_and_b32 s6, s4, exec_lo
	s_delay_alu instid0(SALU_CYCLE_1)
	s_or_b32 s0, s0, s6
	s_and_not1_b32 exec_lo, exec_lo, s3
	s_cbranch_execz .LBB2_1239
.LBB2_1236:                             ; =>This Inner Loop Header: Depth=1
	s_cmp_lt_i32 s5, 0x270f
	s_cselect_b32 s6, -1, 0
	s_delay_alu instid0(SALU_CYCLE_1)
	s_and_b32 vcc_lo, exec_lo, s6
	s_cbranch_vccnz .LBB2_1238
; %bb.1237:                             ;   in Loop: Header=BB2_1236 Depth=1
	s_trap 2
	ds_load_b64 v[4:5], v0
	s_and_not1_b32 s6, s6, exec_lo
	s_mov_b32 s5, 0
	s_wait_storecnt_dscnt 0x0
	flat_load_b32 v0, v[4:5] scope:SCOPE_SYS
	s_wait_loadcnt_dscnt 0x0
	global_inv scope:SCOPE_SYS
	v_cmp_eq_u32_e32 vcc_lo, 0, v0
	s_and_b32 s7, vcc_lo, exec_lo
	s_delay_alu instid0(SALU_CYCLE_1)
	s_or_b32 s6, s6, s7
	s_mov_b32 s7, -1
	s_or_b32 s4, s4, exec_lo
	s_wait_xcnt 0x0
	s_and_saveexec_b32 s10, s6
	s_cbranch_execz .LBB2_1235
	s_branch .LBB2_1234
.LBB2_1238:                             ;   in Loop: Header=BB2_1236 Depth=1
	s_add_co_i32 s5, s5, 1
                                        ; implicit-def: $vgpr0
	s_mov_b32 s7, -1
	s_or_b32 s4, s4, exec_lo
	s_and_saveexec_b32 s10, s6
	s_cbranch_execz .LBB2_1235
	s_branch .LBB2_1234
.LBB2_1239:
	s_or_b32 exec_lo, exec_lo, s3
	s_and_saveexec_b32 s3, s0
	s_delay_alu instid0(SALU_CYCLE_1)
	s_xor_b32 s3, exec_lo, s3
	s_cbranch_execz .LBB2_1241
; %bb.1240:
	s_wait_loadcnt 0x0
	s_wait_storecnt 0x0
	ds_store_b32 v0, v0
	s_trap 2
.LBB2_1241:
	s_or_b32 exec_lo, exec_lo, s2
	v_and_b32_e32 v0, 0x2000, v30
	s_mov_b32 s0, exec_lo
	s_delay_alu instid0(VALU_DEP_1)
	v_cmpx_ne_u32_e32 0, v0
	s_cbranch_execz .LBB2_1243
; %bb.1242:
	s_trap 2
	ds_load_b64 v[2:3], v0
	s_wait_dscnt 0x0
	flat_store_b64 v[16:17], v[2:3] offset:16
.LBB2_1243:
	s_wait_xcnt 0x0
	s_or_b32 exec_lo, exec_lo, s0
	v_cmp_ne_u32_e32 vcc_lo, 32, v1
	s_and_b32 exec_lo, exec_lo, vcc_lo
	s_cbranch_execz .LBB2_1261
; %bb.1244:
	s_mov_b32 s0, exec_lo
	v_cmpx_ne_u32_e64 v1, v56
	s_xor_b32 s0, exec_lo, s0
	s_cbranch_execz .LBB2_1259
; %bb.1245:
	v_and_b32_e32 v0, 31, v31
	s_mov_b32 s2, exec_lo
	s_delay_alu instid0(VALU_DEP_1)
	v_cmpx_eq_u32_e32 0, v0
	s_cbranch_execz .LBB2_1258
; %bb.1246:
	s_mov_b32 s4, exec_lo
	s_mov_b32 s3, exec_lo
	v_mbcnt_lo_u32_b32 v0, s4, 0
	global_wb scope:SCOPE_DEV
	s_wait_storecnt 0x0
	s_wait_loadcnt_dscnt 0x0
	global_inv scope:SCOPE_DEV
	v_cmpx_eq_u32_e32 0, v0
	s_cbranch_execz .LBB2_1248
; %bb.1247:
	s_bcnt1_i32_b32 s4, s4
	s_delay_alu instid0(SALU_CYCLE_1)
	v_dual_mov_b32 v3, 0 :: v_dual_mov_b32 v2, s4
	s_wait_loadcnt 0x0
	ds_add_u64 v0, v[2:3]
	s_trap 2
.LBB2_1248:
	s_or_b32 exec_lo, exec_lo, s3
	s_trap 2
	ds_load_b64 v[2:3], v0
	s_wait_dscnt 0x0
	v_dual_mov_b32 v1, 0 :: v_dual_lshrrev_b32 v0, 5, v1
	s_mov_b32 s3, exec_lo
	s_delay_alu instid0(VALU_DEP_1) | instskip(NEXT) | instid1(VALU_DEP_1)
	v_add_nc_u64_e32 v[0:1], v[12:13], v[0:1]
	v_cmpx_lt_u64_e64 v[2:3], v[0:1]
	s_cbranch_execz .LBB2_1257
; %bb.1249:
	s_mov_b32 s4, 0
	s_mov_b32 s7, 0
                                        ; implicit-def: $sgpr5
                                        ; implicit-def: $sgpr6
	s_branch .LBB2_1251
.LBB2_1250:                             ;   in Loop: Header=BB2_1251 Depth=1
	s_or_b32 exec_lo, exec_lo, s11
	s_delay_alu instid0(SALU_CYCLE_1) | instskip(NEXT) | instid1(SALU_CYCLE_1)
	s_and_b32 s10, exec_lo, s12
	s_or_b32 s4, s10, s4
	s_and_not1_b32 s5, s5, exec_lo
	s_and_b32 s10, s6, exec_lo
	s_delay_alu instid0(SALU_CYCLE_1)
	s_or_b32 s5, s5, s10
	s_and_not1_b32 exec_lo, exec_lo, s4
	s_cbranch_execz .LBB2_1255
.LBB2_1251:                             ; =>This Inner Loop Header: Depth=1
	s_add_co_i32 s7, s7, 1
	s_delay_alu instid0(SALU_CYCLE_1) | instskip(SKIP_1) | instid1(SALU_CYCLE_1)
	s_cmp_lg_u32 s7, 0x2710
	s_cselect_b32 s10, -1, 0
	s_and_b32 vcc_lo, exec_lo, s10
	s_cbranch_vccz .LBB2_1253
; %bb.1252:                             ;   in Loop: Header=BB2_1251 Depth=1
	s_mov_b32 s12, -1
	s_or_b32 s6, s6, exec_lo
	s_and_saveexec_b32 s11, s10
	s_cbranch_execz .LBB2_1250
	s_branch .LBB2_1254
.LBB2_1253:                             ;   in Loop: Header=BB2_1251 Depth=1
	s_trap 2
	ds_load_b64 v[2:3], v0
	s_and_not1_b32 s10, s10, exec_lo
	s_mov_b32 s7, 0
	s_wait_loadcnt_dscnt 0x0
	flat_load_b32 v2, v[2:3] scope:SCOPE_SYS
	s_wait_loadcnt_dscnt 0x0
	global_inv scope:SCOPE_SYS
	v_cmp_eq_u32_e32 vcc_lo, 0, v2
	s_and_b32 s11, vcc_lo, exec_lo
	s_delay_alu instid0(SALU_CYCLE_1)
	s_or_b32 s10, s10, s11
	s_mov_b32 s12, -1
	s_or_b32 s6, s6, exec_lo
	s_and_saveexec_b32 s11, s10
	s_cbranch_execz .LBB2_1250
.LBB2_1254:                             ;   in Loop: Header=BB2_1251 Depth=1
	s_sleep 1
	s_trap 2
	ds_load_b64 v[2:3], v0
	s_wait_dscnt 0x0
	s_and_not1_b32 s6, s6, exec_lo
	v_cmp_ge_u64_e32 vcc_lo, v[2:3], v[0:1]
	s_or_not1_b32 s12, vcc_lo, exec_lo
	s_branch .LBB2_1250
.LBB2_1255:
	s_or_b32 exec_lo, exec_lo, s4
	s_and_saveexec_b32 s4, s5
	s_delay_alu instid0(SALU_CYCLE_1)
	s_xor_b32 s4, exec_lo, s4
	s_cbranch_execz .LBB2_1257
; %bb.1256:
	v_mov_b32_e32 v0, 1
	ds_store_b32 v0, v0
	s_trap 2
.LBB2_1257:
	s_or_b32 exec_lo, exec_lo, s3
	;;#ASMSTART
	s_wakeup
	;;#ASMEND
.LBB2_1258:
	s_or_b32 exec_lo, exec_lo, s2
.LBB2_1259:
	s_and_not1_saveexec_b32 s0, s0
	s_cbranch_execz .LBB2_1261
; %bb.1260:
	global_wb scope:SCOPE_DEV
	s_wait_storecnt 0x0
	s_wait_loadcnt_dscnt 0x0
	global_inv scope:SCOPE_DEV
	s_barrier_signal -1
	s_barrier_wait -1
.LBB2_1261:
	s_or_b32 exec_lo, exec_lo, s1
.LBB2_1262:
	s_and_not1_saveexec_b32 s21, s42
	s_cbranch_execz .LBB2_1264
; %bb.1263:
	s_get_pc_i64 s[0:1]
	s_add_nc_u64 s[0:1], s[0:1], __PRETTY_FUNCTION__._ZN10PrimitivesIf8FuncProdIfE12FanSymmetricILi1EELi0E11ProtoSimpleILi2ELi2ELi0ELi1ELi0ELi0EELi0ELb0ELi0ELi0ELi0EEC2EiiPKiS8_PKvPvmhhhP15ncclDevWorkCollP14ncclDevWorkP2pii@rel64+4
	s_get_pc_i64 s[2:3]
	s_add_nc_u64 s[2:3], s[2:3], __assert_fail@rel64+4
	v_dual_mov_b32 v0, s0 :: v_dual_mov_b32 v1, s1
	s_swap_pc_i64 s[30:31], s[2:3]
	; divergent unreachable
.LBB2_1264:
	s_or_b32 exec_lo, exec_lo, s21
	s_clause 0x1b
	scratch_load_b32 v91, off, s33
	scratch_load_b32 v90, off, s33 offset:4
	scratch_load_b32 v89, off, s33 offset:8
	;; [unrolled: 1-line block ×27, first 2 shown]
	v_readlane_b32 s30, v92, 0
	v_readlane_b32 s31, v92, 1
	s_mov_b32 s32, s33
	s_wait_xcnt 0x0
	s_or_saveexec_b32 s0, -1
	scratch_load_b32 v92, off, s33 offset:112 ; 4-byte Folded Reload
	s_wait_xcnt 0x0
	s_mov_b32 exec_lo, s0
	s_mov_b32 s33, s79
	s_wait_loadcnt_dscnt 0x0
	s_set_pc_i64 s[30:31]
.Lfunc_end2:
	.size	_ZN12_GLOBAL__N_17runRingIf8FuncProdIfE11ProtoSimpleILi2ELi2ELi0ELi1ELi0ELi0EELi0ELi0ELi1ELi0EEEviiP15ncclDevWorkColl, .Lfunc_end2-_ZN12_GLOBAL__N_17runRingIf8FuncProdIfE11ProtoSimpleILi2ELi2ELi0ELi1ELi0ELi0EELi0ELi0ELi1ELi0EEEviiP15ncclDevWorkColl
                                        ; -- End function
	.set .L_ZN12_GLOBAL__N_17runRingIf8FuncProdIfE11ProtoSimpleILi2ELi2ELi0ELi1ELi0ELi0EELi0ELi0ELi1ELi0EEEviiP15ncclDevWorkColl.num_vgpr, max(120, .L__assert_fail.num_vgpr)
	.set .L_ZN12_GLOBAL__N_17runRingIf8FuncProdIfE11ProtoSimpleILi2ELi2ELi0ELi1ELi0ELi0EELi0ELi0ELi1ELi0EEEviiP15ncclDevWorkColl.num_agpr, max(0, .L__assert_fail.num_agpr)
	.set .L_ZN12_GLOBAL__N_17runRingIf8FuncProdIfE11ProtoSimpleILi2ELi2ELi0ELi1ELi0ELi0EELi0ELi0ELi1ELi0EEEviiP15ncclDevWorkColl.numbered_sgpr, max(80, .L__assert_fail.numbered_sgpr)
	.set .L_ZN12_GLOBAL__N_17runRingIf8FuncProdIfE11ProtoSimpleILi2ELi2ELi0ELi1ELi0ELi0EELi0ELi0ELi1ELi0EEEviiP15ncclDevWorkColl.num_named_barrier, max(0, .L__assert_fail.num_named_barrier)
	.set .L_ZN12_GLOBAL__N_17runRingIf8FuncProdIfE11ProtoSimpleILi2ELi2ELi0ELi1ELi0ELi0EELi0ELi0ELi1ELi0EEEviiP15ncclDevWorkColl.private_seg_size, 128+max(.L__assert_fail.private_seg_size)
	.set .L_ZN12_GLOBAL__N_17runRingIf8FuncProdIfE11ProtoSimpleILi2ELi2ELi0ELi1ELi0ELi0EELi0ELi0ELi1ELi0EEEviiP15ncclDevWorkColl.uses_vcc, or(1, .L__assert_fail.uses_vcc)
	.set .L_ZN12_GLOBAL__N_17runRingIf8FuncProdIfE11ProtoSimpleILi2ELi2ELi0ELi1ELi0ELi0EELi0ELi0ELi1ELi0EEEviiP15ncclDevWorkColl.uses_flat_scratch, or(1, .L__assert_fail.uses_flat_scratch)
	.set .L_ZN12_GLOBAL__N_17runRingIf8FuncProdIfE11ProtoSimpleILi2ELi2ELi0ELi1ELi0ELi0EELi0ELi0ELi1ELi0EEEviiP15ncclDevWorkColl.has_dyn_sized_stack, or(0, .L__assert_fail.has_dyn_sized_stack)
	.set .L_ZN12_GLOBAL__N_17runRingIf8FuncProdIfE11ProtoSimpleILi2ELi2ELi0ELi1ELi0ELi0EELi0ELi0ELi1ELi0EEEviiP15ncclDevWorkColl.has_recursion, or(1, .L__assert_fail.has_recursion)
	.set .L_ZN12_GLOBAL__N_17runRingIf8FuncProdIfE11ProtoSimpleILi2ELi2ELi0ELi1ELi0ELi0EELi0ELi0ELi1ELi0EEEviiP15ncclDevWorkColl.has_indirect_call, or(0, .L__assert_fail.has_indirect_call)
	.section	.AMDGPU.csdata,"",@progbits
; Function info:
; codeLenInByte = 41840
; TotalNumSgprs: 82
; NumVgprs: 120
; ScratchSize: 192
; MemoryBound: 1
	.text
	.p2align	2                               ; -- Begin function _Z48ncclDevFunc_AllReduce_RING_SIMPLE_Prod_f32_0_0_1v
	.type	_Z48ncclDevFunc_AllReduce_RING_SIMPLE_Prod_f32_0_0_1v,@function
_Z48ncclDevFunc_AllReduce_RING_SIMPLE_Prod_f32_0_0_1v: ; @_Z48ncclDevFunc_AllReduce_RING_SIMPLE_Prod_f32_0_0_1v
; %bb.0:
	s_wait_loadcnt_dscnt 0x0
	s_wait_kmcnt 0x0
	s_mov_b32 s95, s33
	s_mov_b32 s33, s32
	s_or_saveexec_b32 s0, -1
	scratch_store_b32 off, v42, s33 offset:12 ; 4-byte Folded Spill
	s_wait_xcnt 0x0
	s_mov_b32 exec_lo, s0
	s_add_co_i32 s32, s32, 32
	s_clause 0x2
	scratch_store_b32 off, v40, s33 offset:8
	; meta instruction
	scratch_store_b32 off, v41, s33 offset:4
	; meta instruction
	scratch_store_b32 off, v92, s33
	v_writelane_b32 v42, s30, 0
	v_writelane_b32 v42, s31, 1
	s_trap 2
	ds_load_b32 v0, v0
	s_wait_xcnt 0x2
	v_mov_b32_e32 v40, v31
	s_wait_dscnt 0x0
	v_cmp_gt_i32_e32 vcc_lo, 1, v0
	s_cbranch_vccnz .LBB3_8
; %bb.1:
	s_wait_xcnt 0x1
	v_and_b32_e32 v41, 0x3ff, v40
	s_mov_b32 s90, s12
	s_mov_b64 s[88:89], s[8:9]
	s_mov_b32 s91, 0
	s_get_pc_i64 s[92:93]
	s_add_nc_u64 s[92:93], s[92:93], _ZN12_GLOBAL__N_17runRingIf8FuncProdIfE11ProtoSimpleILi2ELi2ELi0ELi1ELi0ELi0EELi0ELi0ELi1ELi0EEEviiP15ncclDevWorkColl@rel64+4
	s_branch .LBB3_3
.LBB3_2:                                ;   in Loop: Header=BB3_3 Depth=1
	s_or_b32 exec_lo, exec_lo, s94
	s_trap 2
	ds_load_b32 v0, v0
	s_add_co_i32 s91, s91, 1
	s_wait_dscnt 0x0
	v_cmp_lt_i32_e32 vcc_lo, s91, v0
	s_cbranch_vccz .LBB3_8
.LBB3_3:                                ; =>This Inner Loop Header: Depth=1
	s_trap 2
	ds_load_b32 v0, v0
	s_cmp_eq_u32 s91, 0
	s_cbranch_scc1 .LBB3_6
; %bb.4:                                ;   in Loop: Header=BB3_3 Depth=1
	s_trap 2
	s_wait_dscnt 0x0
	ds_load_b32 v1, v0
	s_wait_dscnt 0x0
	v_xor_b32_e32 v1, v1, v0
	s_delay_alu instid0(VALU_DEP_1) | instskip(NEXT) | instid1(VALU_DEP_1)
	v_and_b32_e32 v1, 0xff0000, v1
	v_cmp_eq_u32_e32 vcc_lo, 0, v1
	s_cbranch_vccnz .LBB3_6
; %bb.5:                                ;   in Loop: Header=BB3_3 Depth=1
	s_wait_storecnt 0x0
	s_barrier_signal -1
	s_barrier_wait -1
	ds_load_b32 v0, v0
.LBB3_6:                                ;   in Loop: Header=BB3_3 Depth=1
	s_wait_dscnt 0x0
	v_lshrrev_b32_e32 v0, 11, v0
	s_mov_b32 s94, exec_lo
	s_delay_alu instid0(VALU_DEP_1) | instskip(SKIP_1) | instid1(VALU_DEP_1)
	v_and_b32_e32 v1, 0x1fe0, v0
	s_wait_xcnt 0x0
	v_cmpx_lt_u32_e64 v41, v1
	s_cbranch_execz .LBB3_2
; %bb.7:                                ;   in Loop: Header=BB3_3 Depth=1
	s_mov_b64 s[0:1], src_shared_base
	v_dual_mov_b32 v31, v40 :: v_dual_mov_b32 v0, v41
	v_mov_b32_e32 v3, s1
	s_mov_b64 s[8:9], s[88:89]
	s_mov_b32 s12, s90
	s_swap_pc_i64 s[30:31], s[92:93]
	s_branch .LBB3_2
.LBB3_8:
	s_clause 0x2
	scratch_load_b32 v92, off, s33
	scratch_load_b32 v41, off, s33 offset:4
	scratch_load_b32 v40, off, s33 offset:8
	v_readlane_b32 s30, v42, 0
	v_readlane_b32 s31, v42, 1
	s_mov_b32 s32, s33
	s_wait_xcnt 0x0
	s_or_saveexec_b32 s0, -1
	scratch_load_b32 v42, off, s33 offset:12 ; 4-byte Folded Reload
	s_wait_xcnt 0x0
	s_mov_b32 exec_lo, s0
	s_mov_b32 s33, s95
	s_wait_loadcnt 0x0
	s_set_pc_i64 s[30:31]
.Lfunc_end3:
	.size	_Z48ncclDevFunc_AllReduce_RING_SIMPLE_Prod_f32_0_0_1v, .Lfunc_end3-_Z48ncclDevFunc_AllReduce_RING_SIMPLE_Prod_f32_0_0_1v
                                        ; -- End function
	.set .L_Z48ncclDevFunc_AllReduce_RING_SIMPLE_Prod_f32_0_0_1v.num_vgpr, max(93, .L_ZN12_GLOBAL__N_17runRingIf8FuncProdIfE11ProtoSimpleILi2ELi2ELi0ELi1ELi0ELi0EELi0ELi0ELi1ELi0EEEviiP15ncclDevWorkColl.num_vgpr)
	.set .L_Z48ncclDevFunc_AllReduce_RING_SIMPLE_Prod_f32_0_0_1v.num_agpr, max(0, .L_ZN12_GLOBAL__N_17runRingIf8FuncProdIfE11ProtoSimpleILi2ELi2ELi0ELi1ELi0ELi0EELi0ELi0ELi1ELi0EEEviiP15ncclDevWorkColl.num_agpr)
	.set .L_Z48ncclDevFunc_AllReduce_RING_SIMPLE_Prod_f32_0_0_1v.numbered_sgpr, max(96, .L_ZN12_GLOBAL__N_17runRingIf8FuncProdIfE11ProtoSimpleILi2ELi2ELi0ELi1ELi0ELi0EELi0ELi0ELi1ELi0EEEviiP15ncclDevWorkColl.numbered_sgpr)
	.set .L_Z48ncclDevFunc_AllReduce_RING_SIMPLE_Prod_f32_0_0_1v.num_named_barrier, max(0, .L_ZN12_GLOBAL__N_17runRingIf8FuncProdIfE11ProtoSimpleILi2ELi2ELi0ELi1ELi0ELi0EELi0ELi0ELi1ELi0EEEviiP15ncclDevWorkColl.num_named_barrier)
	.set .L_Z48ncclDevFunc_AllReduce_RING_SIMPLE_Prod_f32_0_0_1v.private_seg_size, 32+max(.L_ZN12_GLOBAL__N_17runRingIf8FuncProdIfE11ProtoSimpleILi2ELi2ELi0ELi1ELi0ELi0EELi0ELi0ELi1ELi0EEEviiP15ncclDevWorkColl.private_seg_size)
	.set .L_Z48ncclDevFunc_AllReduce_RING_SIMPLE_Prod_f32_0_0_1v.uses_vcc, or(1, .L_ZN12_GLOBAL__N_17runRingIf8FuncProdIfE11ProtoSimpleILi2ELi2ELi0ELi1ELi0ELi0EELi0ELi0ELi1ELi0EEEviiP15ncclDevWorkColl.uses_vcc)
	.set .L_Z48ncclDevFunc_AllReduce_RING_SIMPLE_Prod_f32_0_0_1v.uses_flat_scratch, or(1, .L_ZN12_GLOBAL__N_17runRingIf8FuncProdIfE11ProtoSimpleILi2ELi2ELi0ELi1ELi0ELi0EELi0ELi0ELi1ELi0EEEviiP15ncclDevWorkColl.uses_flat_scratch)
	.set .L_Z48ncclDevFunc_AllReduce_RING_SIMPLE_Prod_f32_0_0_1v.has_dyn_sized_stack, or(0, .L_ZN12_GLOBAL__N_17runRingIf8FuncProdIfE11ProtoSimpleILi2ELi2ELi0ELi1ELi0ELi0EELi0ELi0ELi1ELi0EEEviiP15ncclDevWorkColl.has_dyn_sized_stack)
	.set .L_Z48ncclDevFunc_AllReduce_RING_SIMPLE_Prod_f32_0_0_1v.has_recursion, or(1, .L_ZN12_GLOBAL__N_17runRingIf8FuncProdIfE11ProtoSimpleILi2ELi2ELi0ELi1ELi0ELi0EELi0ELi0ELi1ELi0EEEviiP15ncclDevWorkColl.has_recursion)
	.set .L_Z48ncclDevFunc_AllReduce_RING_SIMPLE_Prod_f32_0_0_1v.has_indirect_call, or(0, .L_ZN12_GLOBAL__N_17runRingIf8FuncProdIfE11ProtoSimpleILi2ELi2ELi0ELi1ELi0ELi0EELi0ELi0ELi1ELi0EEEviiP15ncclDevWorkColl.has_indirect_call)
	.section	.AMDGPU.csdata,"",@progbits
; Function info:
; codeLenInByte = 464
; TotalNumSgprs: 98
; NumVgprs: 120
; ScratchSize: 224
; MemoryBound: 0
	.text
	.p2align	2                               ; -- Begin function _ZN12_GLOBAL__N_17runRingIf8FuncProdIfE11ProtoSimpleILi2ELi2ELi0ELi2ELi0ELi0EELi0ELi0ELi2ELi0EEEviiP15ncclDevWorkColl
	.type	_ZN12_GLOBAL__N_17runRingIf8FuncProdIfE11ProtoSimpleILi2ELi2ELi0ELi2ELi0ELi0EELi0ELi0ELi2ELi0EEEviiP15ncclDevWorkColl,@function
_ZN12_GLOBAL__N_17runRingIf8FuncProdIfE11ProtoSimpleILi2ELi2ELi0ELi2ELi0ELi0EELi0ELi0ELi2ELi0EEEviiP15ncclDevWorkColl: ; @_ZN12_GLOBAL__N_17runRingIf8FuncProdIfE11ProtoSimpleILi2ELi2ELi0ELi2ELi0ELi0EELi0ELi0ELi2ELi0EEEviiP15ncclDevWorkColl
; %bb.0:
	s_wait_loadcnt_dscnt 0x0
	s_wait_kmcnt 0x0
	s_mov_b32 s79, s33
	s_mov_b32 s33, s32
	s_or_saveexec_b32 s0, -1
	scratch_store_b32 off, v104, s33 offset:128 ; 4-byte Folded Spill
	s_wait_xcnt 0x0
	s_mov_b32 exec_lo, s0
	s_addk_co_i32 s32, 0x90
	s_clause 0x1f
	scratch_store_b32 off, v40, s33 offset:124
	; meta instruction
	scratch_store_b32 off, v41, s33 offset:120
	; meta instruction
	;; [unrolled: 2-line block ×31, first 2 shown]
	scratch_store_b32 off, v95, s33
	v_writelane_b32 v104, s30, 0
	v_writelane_b32 v104, s31, 1
	s_trap 2
	flat_load_b32 v7, v[2:3]
	ds_load_b32 v6, v0
	s_mov_b32 s0, exec_lo
                                        ; implicit-def: $vgpr32_vgpr33
                                        ; implicit-def: $vgpr14_vgpr15
                                        ; implicit-def: $vgpr4_vgpr5
	s_wait_dscnt 0x0
	v_readfirstlane_b32 s16, v6
	s_wait_loadcnt 0x0
	v_and_b32_e32 v8, 0xff, v7
	s_wait_xcnt 0x0
	s_delay_alu instid0(VALU_DEP_1)
	v_cmpx_ne_u32_e64 v6, v8
	s_xor_b32 s0, exec_lo, s0
	s_cbranch_execz .LBB4_6
; %bb.1:
	v_bfe_u32 v9, v7, 8, 8
	v_not_b32_e32 v8, v8
	s_mov_b32 s1, exec_lo
                                        ; implicit-def: $vgpr32_vgpr33
                                        ; implicit-def: $vgpr14_vgpr15
                                        ; implicit-def: $vgpr4_vgpr5
	s_delay_alu instid0(VALU_DEP_2)
	v_cmpx_ne_u32_e64 v6, v9
	s_xor_b32 s1, exec_lo, s1
	s_cbranch_execz .LBB4_3
; %bb.2:
	s_clause 0x1
	flat_load_b128 v[10:13], v[2:3] offset:72
	flat_load_b64 v[4:5], v[2:3] offset:96
	v_add_nc_u32_e32 v6, v6, v8
                                        ; implicit-def: $vgpr9
                                        ; implicit-def: $vgpr8
	s_wait_loadcnt_dscnt 0x101
	s_delay_alu instid0(VALU_DEP_1) | instskip(SKIP_3) | instid1(VALU_DEP_3)
	v_mad_nc_u64_u32 v[14:15], v12, v6, v[10:11]
	s_wait_loadcnt_dscnt 0x0
	v_lshrrev_b64 v[32:33], 14, v[4:5]
	v_mov_b64_e32 v[4:5], v[12:13]
	v_mad_u32 v7, v13, v6, v15
	v_ashrrev_i32_e32 v6, 31, v6
	s_delay_alu instid0(VALU_DEP_1)
	v_mad_u32 v15, v12, v6, v7
.LBB4_3:
	s_wait_xcnt 0x0
	s_and_not1_saveexec_b32 s1, s1
	s_cbranch_execz .LBB4_5
; %bb.4:
	s_clause 0x1
	flat_load_b128 v[10:13], v[2:3] offset:72
	flat_load_b128 v[4:7], v[2:3] offset:88
	s_wait_loadcnt_dscnt 0x0
	v_dual_add_nc_u32 v6, v9, v8 :: v_dual_lshrrev_b32 v32, 3, v7
	s_delay_alu instid0(VALU_DEP_1) | instskip(NEXT) | instid1(VALU_DEP_1)
	v_mad_nc_u64_u32 v[14:15], v12, v6, v[10:11]
	v_mad_u32 v8, v13, v6, v15
	v_ashrrev_i32_e32 v6, 31, v6
	s_delay_alu instid0(VALU_DEP_1)
	v_mad_u32 v15, v12, v6, v8
.LBB4_5:
	s_wait_xcnt 0x0
	s_or_b32 exec_lo, exec_lo, s1
.LBB4_6:
	s_and_not1_saveexec_b32 s0, s0
	s_cbranch_execz .LBB4_8
; %bb.7:
	s_clause 0x1
	flat_load_b64 v[6:7], v[2:3] offset:96
	flat_load_b64 v[4:5], v[2:3] offset:72
	v_mov_b64_e32 v[14:15], 0
	s_wait_loadcnt_dscnt 0x101
	v_lshlrev_b64_e32 v[32:33], 7, v[6:7]
.LBB4_8:
	s_wait_xcnt 0x0
	s_or_b32 exec_lo, exec_lo, s0
	s_trap 2
	ds_load_b64 v[6:7], v0
	s_mov_b32 s1, 0
	s_mov_b32 s2, exec_lo
	s_wait_dscnt 0x0
	v_cmp_ne_u32_e32 vcc_lo, -1, v6
	v_cndmask_b32_e64 v71, 0, 1, vcc_lo
	v_cmp_ne_u32_e32 vcc_lo, -1, v7
	s_delay_alu instid0(VALU_DEP_2) | instskip(NEXT) | instid1(VALU_DEP_1)
	v_add_co_ci_u32_e64 v8, null, 0, v71, vcc_lo
	v_lshlrev_b32_e32 v6, 1, v8
	s_delay_alu instid0(VALU_DEP_1)
	v_cmpx_le_u32_e64 v6, v1
	s_xor_b32 s42, exec_lo, s2
	s_cbranch_execz .LBB4_1258
; %bb.9:
	s_clause 0x3
	flat_load_b128 v[10:13], v[2:3] offset:16
	flat_load_b64 v[34:35], v[2:3] offset:104
	flat_load_u16 v7, v[2:3] offset:8
	flat_load_b32 v6, v[2:3] offset:4
	s_trap 2
	s_load_b32 s0, s[8:9], 0x0
	s_bfe_u32 s2, ttmp6, 0x4000c
	s_and_b32 s3, ttmp6, 15
	s_add_co_i32 s2, s2, 1
	s_getreg_b32 s4, hwreg(HW_REG_IB_STS2, 6, 4)
	s_mul_i32 s2, ttmp9, s2
	v_dual_mov_b32 v9, 0 :: v_dual_mov_b32 v30, 4
	s_add_co_i32 s3, s3, s2
	s_cmp_eq_u32 s4, 0
	s_cselect_b32 s2, ttmp9, s3
	s_wait_kmcnt 0x0
	s_cmp_lt_u32 s2, s0
	s_cselect_b32 s0, 12, 18
	s_delay_alu instid0(SALU_CYCLE_1)
	s_add_nc_u64 s[0:1], s[8:9], s[0:1]
	global_load_u16 v23, v9, s[0:1]
	s_wait_xcnt 0x0
	ds_load_b32 v9, v0
	s_mov_b32 s1, exec_lo
	s_wait_dscnt 0x0
	v_readfirstlane_b32 s6, v9
	v_cmpx_ge_i32_e64 v0, v71
	s_cbranch_execz .LBB4_19
; %bb.10:
	v_cmp_ge_u32_e64 s0, v0, v8
                                        ; implicit-def: $vgpr30
	s_and_saveexec_b32 s2, s0
	s_delay_alu instid0(SALU_CYCLE_1)
	s_xor_b32 s0, exec_lo, s2
	s_cbranch_execz .LBB4_16
; %bb.11:
	v_cndmask_b32_e64 v9, 0, 1, vcc_lo
	s_mov_b32 s2, exec_lo
	s_delay_alu instid0(VALU_DEP_1) | instskip(NEXT) | instid1(VALU_DEP_1)
	v_sub_nc_u32_e32 v9, v1, v9
	v_cmpx_ge_u32_e64 v0, v9
	s_xor_b32 s2, exec_lo, s2
; %bb.12:
                                        ; implicit-def: $vgpr8
; %bb.13:
	s_delay_alu instid0(SALU_CYCLE_1)
	s_or_saveexec_b32 s2, s2
	v_mov_b32_e32 v30, 16
	s_xor_b32 exec_lo, exec_lo, s2
; %bb.14:
	v_sub_nc_u32_e32 v8, v1, v8
	s_delay_alu instid0(VALU_DEP_1)
	v_cmp_lt_i32_e32 vcc_lo, v0, v8
	v_cndmask_b32_e64 v30, 32, 0, vcc_lo
; %bb.15:
	s_or_b32 exec_lo, exec_lo, s2
.LBB4_16:
	s_and_not1_saveexec_b32 s0, s0
; %bb.17:
	v_mov_b32_e32 v30, 8
; %bb.18:
	s_or_b32 exec_lo, exec_lo, s0
.LBB4_19:
	s_delay_alu instid0(SALU_CYCLE_1) | instskip(NEXT) | instid1(VALU_DEP_1)
	s_or_b32 exec_lo, exec_lo, s1
	v_dual_mov_b32 v33, -1 :: v_dual_bitop2_b32 v8, 36, v30 bitop3:0x40
	s_delay_alu instid0(VALU_DEP_1)
	v_cmp_ne_u32_e32 vcc_lo, 0, v8
	s_and_saveexec_b32 s0, vcc_lo
	s_cbranch_execz .LBB4_21
; %bb.20:
	s_trap 2
	ds_load_b32 v33, v0
.LBB4_21:
	s_or_b32 exec_lo, exec_lo, s0
	v_and_b32_e32 v8, 24, v30
	s_mov_b32 s1, exec_lo
	s_delay_alu instid0(VALU_DEP_1)
	v_cmpx_ne_u32_e32 0, v8
	s_cbranch_execz .LBB4_23
; %bb.22:
	s_trap 2
	s_wait_dscnt 0x0
	ds_load_b32 v33, v0
.LBB4_23:
	s_or_b32 exec_lo, exec_lo, s1
	s_wait_loadcnt 0x1
	v_lshrrev_b64 v[8:9], 31, v[6:7]
	v_mov_b64_e32 v[18:19], 0
	v_mov_b64_e32 v[6:7], 0
                                        ; implicit-def: $vgpr16_vgpr17
                                        ; implicit-def: $vgpr22
                                        ; implicit-def: $vgpr86_vgpr87
                                        ; implicit-def: $vgpr24_vgpr25
                                        ; implicit-def: $vgpr28_vgpr29
                                        ; implicit-def: $vgpr20_vgpr21
	s_delay_alu instid0(VALU_DEP_3)
	v_and_b32_e32 v36, 3, v8
	s_and_saveexec_b32 s0, vcc_lo
	s_cbranch_execz .LBB4_33
; %bb.24:
	s_trap 2
	ds_load_b64 v[6:7], v0
	v_and_b32_e32 v8, 0xffff, v36
	s_mov_b32 s1, exec_lo
                                        ; implicit-def: $vgpr16_vgpr17
	s_wait_dscnt 0x0
	v_readfirstlane_b32 s2, v6
	v_readfirstlane_b32 s3, v7
	flat_load_b64 v[6:7], v33, s[2:3] scale_offset
	s_wait_loadcnt_dscnt 0x0
	v_mad_nc_u64_u32 v[8:9], 0xa8, v8, v[6:7]
	flat_load_b32 v6, v[8:9] offset:640
	s_wait_loadcnt_dscnt 0x0
	v_cmpx_eq_u32_e32 1, v6
	s_cbranch_execz .LBB4_26
; %bb.25:
	flat_load_b64 v[16:17], v[8:9] offset:648
	v_or_b32_e32 v30, 0x2000, v30
	s_wait_loadcnt_dscnt 0x0
	flat_load_b64 v[6:7], v[16:17]
	s_trap 2
	s_wait_loadcnt_dscnt 0x0
	ds_store_b64 v0, v[6:7]
	flat_load_b64 v[6:7], v[16:17] offset:8
	s_wait_loadcnt_dscnt 0x0
	ds_store_b64 v0, v[6:7]
	flat_load_b64 v[6:7], v[16:17] offset:16
	s_wait_loadcnt_dscnt 0x0
	ds_store_b64 v0, v[6:7]
.LBB4_26:
	s_wait_xcnt 0x0
	s_or_b32 exec_lo, exec_lo, s1
	flat_load_b64 v[6:7], v[8:9] offset:608
	s_mov_b32 s1, exec_lo
                                        ; implicit-def: $vgpr20_vgpr21
	s_wait_loadcnt_dscnt 0x0
	v_add_nc_u64_e32 v[86:87], 3, v[6:7]
	v_and_b32_e32 v6, 32, v30
	s_delay_alu instid0(VALU_DEP_2) | instskip(SKIP_1) | instid1(VALU_DEP_2)
	v_and_b32_e32 v86, -4, v86
	s_wait_xcnt 0x0
	v_cmpx_ne_u32_e32 0, v6
	s_cbranch_execz .LBB4_28
; %bb.27:
	flat_load_b64 v[20:21], v[8:9] offset:560
	global_wb scope:SCOPE_SYS
	s_wait_storecnt 0x0
	s_wait_xcnt 0x0
	s_wait_loadcnt_dscnt 0x0
	flat_store_b64 v[20:21], v[86:87] scope:SCOPE_SYS
.LBB4_28:
	s_wait_xcnt 0x0
	s_or_b32 exec_lo, exec_lo, s1
	v_and_b32_e32 v22, 4, v30
	v_add_nc_u64_e32 v[18:19], 0x1f8, v[8:9]
	v_mov_b64_e32 v[6:7], 0
                                        ; implicit-def: $vgpr24_vgpr25
                                        ; implicit-def: $vgpr28_vgpr29
	s_delay_alu instid0(VALU_DEP_3)
	v_cmp_ne_u32_e32 vcc_lo, 0, v22
                                        ; implicit-def: $vgpr22
	s_and_saveexec_b32 s1, vcc_lo
	s_cbranch_execz .LBB4_32
; %bb.29:
	v_and_b32_e32 v6, 0x800, v30
	s_mov_b32 s2, exec_lo
	s_delay_alu instid0(VALU_DEP_1)
	v_cmpx_eq_u32_e32 0, v6
	s_cbranch_execz .LBB4_31
; %bb.30:
	s_trap 2
	ds_store_b64 v0, v[18:19]
.LBB4_31:
	s_or_b32 exec_lo, exec_lo, s2
	flat_load_b64 v[20:21], v[8:9] offset:552
	s_wait_loadcnt_dscnt 0x0
	flat_load_b64 v[28:29], v[20:21] scope:SCOPE_SYS
	s_clause 0x2
	flat_load_b32 v22, v[8:9] offset:576
	flat_load_b64 v[6:7], v[8:9] offset:600
	flat_load_b64 v[24:25], v[8:9] offset:520
	s_wait_xcnt 0x0
	v_or_b32_e32 v8, 0x100, v30
	s_wait_loadcnt_dscnt 0x202
	v_ashrrev_i32_e32 v22, 2, v22
	s_wait_loadcnt_dscnt 0x101
	v_cmp_eq_u64_e32 vcc_lo, 0, v[6:7]
	v_cndmask_b32_e32 v30, v8, v30, vcc_lo
.LBB4_32:
	s_or_b32 exec_lo, exec_lo, s1
.LBB4_33:
	s_delay_alu instid0(SALU_CYCLE_1) | instskip(NEXT) | instid1(VALU_DEP_1)
	s_or_b32 exec_lo, exec_lo, s0
	v_and_b32_e32 v8, 24, v30
	s_mov_b32 s0, exec_lo
                                        ; implicit-def: $vgpr26_vgpr27
	s_delay_alu instid0(VALU_DEP_1)
	v_cmpx_ne_u32_e32 0, v8
	s_cbranch_execz .LBB4_41
; %bb.34:
	s_trap 2
	ds_load_b64 v[6:7], v0
	v_and_b32_e32 v8, 0xffff, v36
	v_or_b32_e32 v26, 0x100, v30
	s_wait_dscnt 0x0
	v_readfirstlane_b32 s2, v6
	v_readfirstlane_b32 s3, v7
	flat_load_b64 v[6:7], v33, s[2:3] scale_offset
	s_wait_loadcnt_dscnt 0x0
	v_mad_nc_u64_u32 v[18:19], 0xa8, v8, v[6:7]
	flat_load_b128 v[6:9], v[18:19] offset:96
	s_wait_loadcnt_dscnt 0x0
	v_cmp_eq_u64_e32 vcc_lo, 0, v[6:7]
	v_cndmask_b32_e32 v30, v26, v30, vcc_lo
	s_delay_alu instid0(VALU_DEP_1) | instskip(NEXT) | instid1(VALU_DEP_1)
	v_and_b32_e32 v26, 16, v30
	v_cmp_ne_u32_e32 vcc_lo, 0, v26
                                        ; implicit-def: $vgpr26_vgpr27
	s_wait_xcnt 0x0
	s_and_saveexec_b32 s1, vcc_lo
	s_cbranch_execz .LBB4_36
; %bb.35:
	s_clause 0x2
	flat_load_b64 v[20:21], v[18:19] offset:48
	flat_load_b64 v[26:27], v[18:19] offset:120
	;; [unrolled: 1-line block ×3, first 2 shown]
.LBB4_36:
	s_wait_xcnt 0x0
	s_or_b32 exec_lo, exec_lo, s1
	v_add_nc_u64_e32 v[86:87], 3, v[8:9]
	v_and_b32_e32 v8, 8, v30
	s_mov_b32 s1, exec_lo
	s_delay_alu instid0(VALU_DEP_2) | instskip(NEXT) | instid1(VALU_DEP_2)
	v_and_b32_e32 v86, -4, v86
	v_cmpx_ne_u32_e32 0, v8
	s_cbranch_execz .LBB4_40
; %bb.37:
	v_and_b32_e32 v8, 0x800, v30
	s_mov_b32 s2, exec_lo
	s_delay_alu instid0(VALU_DEP_1)
	v_cmpx_eq_u32_e32 0, v8
	s_cbranch_execz .LBB4_39
; %bb.38:
	s_trap 2
	ds_store_b64 v0, v[18:19]
.LBB4_39:
	s_or_b32 exec_lo, exec_lo, s2
	s_wait_loadcnt_dscnt 0x202
	flat_load_b64 v[20:21], v[18:19] offset:56
	s_wait_loadcnt_dscnt 0x0
	flat_load_b64 v[28:29], v[20:21] scope:SCOPE_SYS
	s_clause 0x1
	flat_load_b32 v8, v[18:19] offset:72
	flat_load_b64 v[24:25], v[18:19] offset:16
	s_wait_loadcnt_dscnt 0x101
	v_ashrrev_i32_e32 v22, 2, v8
.LBB4_40:
	s_wait_xcnt 0x0
	s_or_b32 exec_lo, exec_lo, s1
.LBB4_41:
	s_delay_alu instid0(SALU_CYCLE_1)
	s_or_b32 exec_lo, exec_lo, s0
	v_cmp_eq_u32_e64 s0, 0, v0
	s_and_saveexec_b32 s1, s0
	s_cbranch_execz .LBB4_43
; %bb.42:
	flat_load_b64 v[8:9], v[2:3] offset:32
	ds_store_2addr_b64 v0, v[12:13], v[10:11] offset1:1
	s_trap 2
	s_wait_loadcnt_dscnt 0x1
	ds_store_b64 v0, v[8:9]
	ds_store_b64 v0, v[34:35]
.LBB4_43:
	s_wait_xcnt 0x0
	s_or_b32 exec_lo, exec_lo, s1
	v_mov_b64_e32 v[12:13], 0
	s_wait_loadcnt 0x0
	v_and_b32_e32 v56, 0xffff, v23
	s_mov_b32 s43, exec_lo
	v_cmpx_lt_i64_e32 0, v[4:5]
	s_cbranch_execz .LBB4_1224
; %bb.44:
	flat_load_b32 v8, v[2:3] offset:4
	s_wait_xcnt 0x0
	v_and_b32_e32 v2, 0xfffff80, v32
	v_dual_mov_b32 v3, 0 :: v_dual_bitop2_b32 v9, 31, v31 bitop3:0x40
	v_dual_ashrrev_i32 v23, 31, v22 :: v_dual_lshrrev_b32 v32, 5, v1
	v_dual_ashrrev_i32 v10, 31, v0 :: v_dual_lshlrev_b32 v11, 2, v1
	s_ashr_i32 s7, s6, 31
	s_wait_dscnt 0x1
	v_mov_b32_e32 v33, v3
	s_lshr_b32 s7, s7, 29
	v_dual_mov_b32 v49, v3 :: v_dual_lshlrev_b32 v50, 9, v32
	s_add_co_i32 s7, s6, s7
	v_cmp_eq_u32_e64 s6, 0, v9
	v_lshrrev_b32_e32 v9, 27, v10
	s_ashr_i32 s17, s16, 31
	v_and_b32_e32 v52, 0x7f80, v11
	v_mul_u64_e32 v[38:39], s[16:17], v[2:3]
	v_mov_b64_e32 v[84:85], v[2:3]
	v_add_nc_u32_e32 v64, 0xfffffe00, v50
	v_add_nc_u32_e32 v2, v0, v9
	;; [unrolled: 1-line block ×3, first 2 shown]
	s_add_co_i32 s44, s16, s16
	s_not_b32 s10, s16
	s_delay_alu instid0(VALU_DEP_2)
	v_dual_ashrrev_i32 v65, 31, v64 :: v_dual_ashrrev_i32 v60, 5, v2
	v_and_b32_e32 v2, 0xffffffe0, v2
	v_ashrrev_i32_e32 v67, 31, v66
	s_ashr_i32 s11, s7, 5
	s_cmp_gt_i32 s16, 0
	v_cmp_ge_i32_e32 vcc_lo, v0, v1
	v_dual_sub_nc_u32 v61, v0, v2 :: v_dual_lshlrev_b32 v2, 11, v60
	s_cselect_b32 s10, s10, -1
	s_ashr_i32 s7, s7, 31
	s_add_co_i32 s24, s10, s44
	s_lshr_b32 s7, s7, 28
	v_lshl_add_u32 v70, v61, 4, v2
	s_add_co_i32 s11, s11, s7
	v_lshlrev_b32_e32 v9, 10, v60
	s_ashr_i32 s45, s11, 4
	v_cmp_lt_i32_e64 s11, v61, v71
	v_cmp_le_i32_e64 s12, v61, v71
	v_ashrrev_i32_e32 v71, 31, v70
	s_ashr_i32 s25, s24, 31
	s_cmp_gt_i32 s16, 2
	v_mov_b64_e32 v[34:35], 0
	s_cselect_b32 s46, -1, 0
	s_add_co_i32 s13, s16, 1
	v_cmp_eq_u64_e64 s4, 0, v[26:27]
	v_cmp_ne_u64_e64 s5, 0, v[26:27]
	v_mov_b64_e32 v[36:37], 0
	v_mov_b64_e32 v[12:13], 0
	v_add_nc_u64_e32 v[68:69], 0x200, v[64:65]
	v_add_nc_u64_e32 v[80:81], 0x80, v[66:67]
	v_cmp_eq_u32_e64 s1, 32, v1
	v_cmp_ne_u32_e64 s2, 32, v1
	v_cmp_ne_u32_e64 s3, v1, v56
	v_dual_mov_b32 v57, 1 :: v_dual_mov_b32 v58, 0x90
	v_dual_mov_b32 v59, 0x88 :: v_dual_lshlrev_b32 v48, 11, v32
	v_dual_mov_b32 v51, v3 :: v_dual_mov_b32 v53, v3
	v_dual_mov_b32 v55, v3 :: v_dual_lshlrev_b32 v54, 10, v32
	v_cmp_gt_i32_e64 s7, 1, v61
	s_mov_b32 s19, 0
	s_mov_b64 s[20:21], 0xffffffff
	s_add_nc_u64 s[22:23], s[16:17], -1
	s_mov_b32 s59, 0
	s_trap 2
	v_sub_nc_u32_e32 v82, v70, v9
	s_wait_loadcnt_dscnt 0x0
	s_delay_alu instid0(VALU_DEP_1) | instskip(NEXT) | instid1(VALU_DEP_1)
	v_dual_ashrrev_i32 v83, 31, v82 :: v_dual_bitop2_b32 v8, 1, v8 bitop3:0x40
	v_cmp_eq_u32_e64 s10, 1, v8
	s_xor_b32 s47, s10, -1
	s_cmp_ge_i32 s13, s16
	s_cselect_b32 s14, s16, 0
	s_add_co_i32 s56, s16, -2
	s_sub_co_i32 s28, s13, s14
	s_xor_b32 s57, vcc_lo, -1
	s_ashr_i32 s26, s17, 31
	s_sub_co_i32 s58, 0, s16
	s_ashr_i32 s29, s28, 31
	s_branch .LBB4_47
.LBB4_45:                               ;   in Loop: Header=BB4_47 Depth=1
	s_or_b32 exec_lo, exec_lo, s15
.LBB4_46:                               ;   in Loop: Header=BB4_47 Depth=1
	s_delay_alu instid0(SALU_CYCLE_1) | instskip(SKIP_1) | instid1(VALU_DEP_1)
	s_or_b32 exec_lo, exec_lo, s14
	v_add_nc_u64_e32 v[36:37], v[36:37], v[38:39]
	v_cmp_ge_i64_e32 vcc_lo, v[36:37], v[4:5]
	s_or_b32 s59, vcc_lo, s59
	s_delay_alu instid0(SALU_CYCLE_1)
	s_and_not1_b32 exec_lo, exec_lo, s59
	s_cbranch_execz .LBB4_1223
.LBB4_47:                               ; =>This Loop Header: Depth=1
                                        ;     Child Loop BB4_57 Depth 2
                                        ;       Child Loop BB4_65 Depth 3
                                        ;       Child Loop BB4_89 Depth 3
	;; [unrolled: 1-line block ×9, first 2 shown]
                                        ;     Child Loop BB4_201 Depth 2
                                        ;       Child Loop BB4_207 Depth 3
                                        ;       Child Loop BB4_231 Depth 3
	;; [unrolled: 1-line block ×3, first 2 shown]
                                        ;     Child Loop BB4_275 Depth 2
                                        ;       Child Loop BB4_278 Depth 3
                                        ;         Child Loop BB4_286 Depth 4
                                        ;         Child Loop BB4_314 Depth 4
	;; [unrolled: 1-line block ×9, first 2 shown]
                                        ;       Child Loop BB4_424 Depth 3
                                        ;         Child Loop BB4_430 Depth 4
                                        ;         Child Loop BB4_458 Depth 4
	;; [unrolled: 1-line block ×3, first 2 shown]
                                        ;     Child Loop BB4_499 Depth 2
                                        ;       Child Loop BB4_507 Depth 3
                                        ;       Child Loop BB4_535 Depth 3
	;; [unrolled: 1-line block ×5, first 2 shown]
                                        ;         Child Loop BB4_587 Depth 4
                                        ;       Child Loop BB4_596 Depth 3
                                        ;       Child Loop BB4_601 Depth 3
                                        ;         Child Loop BB4_602 Depth 4
                                        ;       Child Loop BB4_614 Depth 3
                                        ;       Child Loop BB4_619 Depth 3
	;; [unrolled: 1-line block ×6, first 2 shown]
                                        ;     Child Loop BB4_680 Depth 2
                                        ;       Child Loop BB4_686 Depth 3
                                        ;       Child Loop BB4_714 Depth 3
	;; [unrolled: 1-line block ×3, first 2 shown]
                                        ;     Child Loop BB4_755 Depth 2
                                        ;       Child Loop BB4_758 Depth 3
                                        ;         Child Loop BB4_766 Depth 4
                                        ;         Child Loop BB4_794 Depth 4
	;; [unrolled: 1-line block ×5, first 2 shown]
                                        ;           Child Loop BB4_846 Depth 5
                                        ;         Child Loop BB4_855 Depth 4
                                        ;         Child Loop BB4_860 Depth 4
                                        ;           Child Loop BB4_861 Depth 5
                                        ;         Child Loop BB4_873 Depth 4
                                        ;         Child Loop BB4_878 Depth 4
	;; [unrolled: 1-line block ×6, first 2 shown]
                                        ;       Child Loop BB4_939 Depth 3
                                        ;         Child Loop BB4_945 Depth 4
                                        ;         Child Loop BB4_973 Depth 4
	;; [unrolled: 1-line block ×3, first 2 shown]
                                        ;     Child Loop BB4_1017 Depth 2
                                        ;       Child Loop BB4_1025 Depth 3
                                        ;       Child Loop BB4_1049 Depth 3
	;; [unrolled: 1-line block ×9, first 2 shown]
                                        ;     Child Loop BB4_1157 Depth 2
                                        ;       Child Loop BB4_1163 Depth 3
                                        ;       Child Loop BB4_1187 Depth 3
	;; [unrolled: 1-line block ×3, first 2 shown]
	v_sub_nc_u64_e32 v[96:97], v[4:5], v[36:37]
	s_mov_b32 s40, exec_lo
	s_delay_alu instid0(VALU_DEP_1)
	v_cmpx_lt_i64_e64 v[96:97], v[38:39]
	s_cbranch_execz .LBB4_53
; %bb.48:                               ;   in Loop: Header=BB4_47 Depth=1
	v_add_nc_u64_e32 v[8:9], s[22:23], v[96:97]
	s_delay_alu instid0(VALU_DEP_1) | instskip(NEXT) | instid1(VALU_DEP_1)
	v_dual_mov_b32 v10, v3 :: v_dual_bitop2_b32 v11, s17, v9 bitop3:0x54
	v_cmp_ne_u64_e32 vcc_lo, 0, v[10:11]
                                        ; implicit-def: $vgpr10_vgpr11
	s_and_saveexec_b32 s13, vcc_lo
	s_delay_alu instid0(SALU_CYCLE_1)
	s_xor_b32 s41, exec_lo, s13
	s_cbranch_execz .LBB4_50
; %bb.49:                               ;   in Loop: Header=BB4_47 Depth=1
	s_mov_b32 s27, s26
	v_dual_mov_b32 v99, v3 :: v_dual_ashrrev_i32 v10, 31, v9
	s_add_nc_u64 s[14:15], s[16:17], s[26:27]
	v_mov_b32_e32 v103, v3
	s_xor_b64 s[14:15], s[14:15], s[26:27]
	s_delay_alu instid0(VALU_DEP_2) | instskip(SKIP_3) | instid1(VALU_DEP_1)
	v_mov_b32_e32 v11, v10
	s_cvt_f32_u32 s13, s14
	s_cvt_f32_u32 s18, s15
	s_sub_nc_u64 s[62:63], 0, s[14:15]
	v_add_nc_u64_e32 v[8:9], v[8:9], v[10:11]
	s_delay_alu instid0(SALU_CYCLE_1) | instskip(NEXT) | instid1(SALU_CYCLE_3)
	s_fmamk_f32 s13, s18, 0x4f800000, s13
	v_s_rcp_f32 s13, s13
	s_delay_alu instid0(VALU_DEP_1) | instskip(NEXT) | instid1(VALU_DEP_2)
	v_xor_b32_e32 v2, v8, v10
	v_xor_b32_e32 v98, v9, v10
	;; [unrolled: 1-line block ×3, first 2 shown]
	s_delay_alu instid0(TRANS32_DEP_1) | instskip(NEXT) | instid1(SALU_CYCLE_3)
	s_mul_f32 s13, s13, 0x5f7ffffc
	s_mul_f32 s18, s13, 0x2f800000
	s_delay_alu instid0(SALU_CYCLE_3) | instskip(NEXT) | instid1(SALU_CYCLE_3)
	s_trunc_f32 s18, s18
	s_fmamk_f32 s13, s18, 0xcf800000, s13
	s_cvt_u32_f32 s61, s18
	s_delay_alu instid0(SALU_CYCLE_2) | instskip(NEXT) | instid1(SALU_CYCLE_3)
	s_cvt_u32_f32 s60, s13
	s_mul_u64 s[72:73], s[62:63], s[60:61]
	s_delay_alu instid0(SALU_CYCLE_1)
	s_mul_hi_u32 s75, s60, s73
	s_mul_i32 s74, s60, s73
	s_mul_hi_u32 s18, s60, s72
	s_mul_i32 s27, s61, s72
	s_add_nc_u64 s[74:75], s[18:19], s[74:75]
	s_mul_hi_u32 s13, s61, s72
	s_mul_hi_u32 s76, s61, s73
	s_add_co_u32 s18, s74, s27
	s_add_co_ci_u32 s18, s75, s13
	s_mul_i32 s72, s61, s73
	s_add_co_ci_u32 s73, s76, 0
	s_delay_alu instid0(SALU_CYCLE_1) | instskip(NEXT) | instid1(SALU_CYCLE_1)
	s_add_nc_u64 s[72:73], s[18:19], s[72:73]
	s_add_co_u32 s60, s60, s72
	s_cselect_b32 s13, -1, 0
	s_delay_alu instid0(SALU_CYCLE_1) | instskip(SKIP_1) | instid1(SALU_CYCLE_1)
	s_cmp_lg_u32 s13, 0
	s_add_co_ci_u32 s61, s61, s73
	s_mul_u64 s[62:63], s[62:63], s[60:61]
	s_delay_alu instid0(SALU_CYCLE_1)
	s_mul_hi_u32 s73, s60, s63
	s_mul_i32 s72, s60, s63
	s_mul_hi_u32 s18, s60, s62
	s_mul_i32 s27, s61, s62
	s_add_nc_u64 s[72:73], s[18:19], s[72:73]
	s_mul_hi_u32 s13, s61, s62
	s_mul_hi_u32 s74, s61, s63
	s_add_co_u32 s18, s72, s27
	s_add_co_ci_u32 s18, s73, s13
	s_mul_i32 s62, s61, s63
	s_add_co_ci_u32 s63, s74, 0
	s_delay_alu instid0(SALU_CYCLE_1) | instskip(NEXT) | instid1(SALU_CYCLE_1)
	s_add_nc_u64 s[62:63], s[18:19], s[62:63]
	s_add_co_u32 s60, s60, s62
	s_cselect_b32 s13, -1, 0
	v_mul_hi_u32 v102, v2, s60
	s_cmp_lg_u32 s13, 0
	s_add_co_ci_u32 s18, s61, s63
	s_and_b64 s[62:63], s[60:61], s[20:21]
	v_mul_u64_e32 v[84:85], s[18:19], v[2:3]
	v_mul_u64_e32 v[8:9], s[62:63], v[98:99]
	;; [unrolled: 1-line block ×3, first 2 shown]
	s_delay_alu instid0(VALU_DEP_3) | instskip(NEXT) | instid1(VALU_DEP_1)
	v_add_nc_u64_e32 v[84:85], v[102:103], v[84:85]
	v_add_co_u32 v8, vcc_lo, v84, v8
	s_delay_alu instid0(VALU_DEP_2) | instskip(NEXT) | instid1(VALU_DEP_4)
	v_add_co_ci_u32_e32 v102, vcc_lo, v85, v9, vcc_lo
	v_add_co_ci_u32_e32 v101, vcc_lo, 0, v101, vcc_lo
	s_delay_alu instid0(VALU_DEP_1) | instskip(NEXT) | instid1(VALU_DEP_1)
	v_add_nc_u64_e32 v[8:9], v[102:103], v[100:101]
	v_mul_u64_e32 v[84:85], s[14:15], v[8:9]
	s_delay_alu instid0(VALU_DEP_1) | instskip(NEXT) | instid1(VALU_DEP_2)
	v_sub_nc_u32_e32 v11, v98, v85
	v_sub_co_u32 v2, vcc_lo, v2, v84
	s_delay_alu instid0(VALU_DEP_1) | instskip(NEXT) | instid1(VALU_DEP_3)
	v_sub_co_ci_u32_e64 v100, null, v98, v85, vcc_lo
	v_subrev_co_ci_u32_e64 v11, null, s15, v11, vcc_lo
	s_delay_alu instid0(VALU_DEP_3) | instskip(SKIP_1) | instid1(VALU_DEP_3)
	v_sub_co_u32 v84, s13, v2, s14
	v_add_nc_u64_e32 v[98:99], 1, v[8:9]
	v_subrev_co_ci_u32_e64 v11, null, 0, v11, s13
	s_delay_alu instid0(VALU_DEP_3) | instskip(SKIP_1) | instid1(VALU_DEP_3)
	v_cmp_le_u32_e32 vcc_lo, s14, v84
	v_cndmask_b32_e64 v84, 0, -1, vcc_lo
	v_cmp_le_u32_e32 vcc_lo, s15, v11
	v_cndmask_b32_e64 v85, 0, -1, vcc_lo
	;; [unrolled: 2-line block ×4, first 2 shown]
	v_cmp_eq_u32_e32 vcc_lo, s15, v11
	v_cndmask_b32_e32 v11, v85, v84, vcc_lo
	v_cmp_eq_u32_e32 vcc_lo, s15, v100
	v_add_nc_u64_e32 v[84:85], 2, v[8:9]
	v_cndmask_b32_e32 v2, v101, v2, vcc_lo
	s_delay_alu instid0(VALU_DEP_4) | instskip(NEXT) | instid1(VALU_DEP_2)
	v_cmp_ne_u32_e32 vcc_lo, 0, v11
	v_cmp_ne_u32_e64 s13, 0, v2
	s_delay_alu instid0(VALU_DEP_4) | instskip(NEXT) | instid1(VALU_DEP_1)
	v_dual_cndmask_b32 v11, v99, v85 :: v_dual_cndmask_b32 v2, v98, v84
	v_dual_cndmask_b32 v9, v9, v11, s13 :: v_dual_cndmask_b32 v2, v8, v2, s13
	s_delay_alu instid0(VALU_DEP_1) | instskip(NEXT) | instid1(VALU_DEP_2)
	v_dual_mov_b32 v11, v10 :: v_dual_bitop2_b32 v9, v9, v10 bitop3:0x14
	v_xor_b32_e32 v8, v2, v10
	s_delay_alu instid0(VALU_DEP_1)
	v_sub_nc_u64_e32 v[10:11], v[8:9], v[10:11]
                                        ; implicit-def: $vgpr8_vgpr9
.LBB4_50:                               ;   in Loop: Header=BB4_47 Depth=1
	s_and_not1_saveexec_b32 s13, s41
	s_cbranch_execz .LBB4_52
; %bb.51:                               ;   in Loop: Header=BB4_47 Depth=1
	v_cvt_f32_u32_e32 v2, s16
	s_delay_alu instid0(VALU_DEP_1) | instskip(SKIP_1) | instid1(TRANS32_DEP_1)
	v_rcp_iflag_f32_e32 v2, v2
	v_nop
	v_mul_f32_e32 v2, 0x4f7ffffe, v2
	s_delay_alu instid0(VALU_DEP_1) | instskip(NEXT) | instid1(VALU_DEP_1)
	v_cvt_u32_f32_e32 v2, v2
	v_mul_lo_u32 v9, s58, v2
	s_delay_alu instid0(VALU_DEP_1) | instskip(NEXT) | instid1(VALU_DEP_1)
	v_mul_hi_u32 v9, v2, v9
	v_add_nc_u32_e32 v2, v2, v9
	s_delay_alu instid0(VALU_DEP_1) | instskip(NEXT) | instid1(VALU_DEP_1)
	v_mul_hi_u32 v2, v8, v2
	v_mul_lo_u32 v9, v2, s16
	s_delay_alu instid0(VALU_DEP_1) | instskip(NEXT) | instid1(VALU_DEP_1)
	v_dual_sub_nc_u32 v8, v8, v9 :: v_dual_add_nc_u32 v9, 1, v2
	v_subrev_nc_u32_e32 v10, s16, v8
	v_cmp_le_u32_e32 vcc_lo, s16, v8
	s_delay_alu instid0(VALU_DEP_2) | instskip(NEXT) | instid1(VALU_DEP_1)
	v_dual_cndmask_b32 v8, v8, v10, vcc_lo :: v_dual_cndmask_b32 v2, v2, v9, vcc_lo
	v_cmp_le_u32_e32 vcc_lo, s16, v8
	s_delay_alu instid0(VALU_DEP_2) | instskip(NEXT) | instid1(VALU_DEP_1)
	v_add_nc_u32_e32 v9, 1, v2
	v_cndmask_b32_e32 v2, v2, v9, vcc_lo
	s_delay_alu instid0(VALU_DEP_1)
	v_mov_b64_e32 v[10:11], v[2:3]
.LBB4_52:                               ;   in Loop: Header=BB4_47 Depth=1
	s_or_b32 exec_lo, exec_lo, s13
	s_delay_alu instid0(VALU_DEP_1) | instskip(NEXT) | instid1(VALU_DEP_1)
	v_add_nc_u64_e32 v[84:85], 3, v[10:11]
	v_and_b32_e32 v84, -4, v84
.LBB4_53:                               ;   in Loop: Header=BB4_47 Depth=1
	s_or_b32 exec_lo, exec_lo, s40
	s_delay_alu instid0(VALU_DEP_1) | instskip(SKIP_2) | instid1(VALU_DEP_3)
	v_mul_u64_e32 v[100:101], s[24:25], v[84:85]
	v_add_nc_u64_e32 v[98:99], v[36:37], v[14:15]
	v_mov_b32_e32 v10, 0
	v_sub_nc_u64_e32 v[8:9], v[96:97], v[100:101]
	s_delay_alu instid0(VALU_DEP_1) | instskip(NEXT) | instid1(VALU_DEP_1)
	v_min_i64 v[8:9], v[84:85], v[8:9]
	v_max_i32_e32 v40, 0, v8
	v_cmp_lt_i32_e32 vcc_lo, 0, v8
	s_delay_alu instid0(VALU_DEP_2) | instskip(SKIP_1) | instid1(VALU_DEP_1)
	v_add_nc_u32_e32 v2, 31, v40
	s_and_b32 s13, s57, vcc_lo
	v_lshrrev_b32_e32 v2, 1, v2
	s_delay_alu instid0(VALU_DEP_1) | instskip(NEXT) | instid1(VALU_DEP_1)
	v_and_b32_e32 v9, 0x3ffffff0, v2
	v_dual_mov_b32 v2, 0 :: v_dual_max_i32 v8, s45, v9
	s_and_saveexec_b32 s14, s13
	s_cbranch_execz .LBB4_197
; %bb.54:                               ;   in Loop: Header=BB4_47 Depth=1
	v_mov_b32_e32 v10, 0
	s_mov_b32 s27, 1
	s_mov_b32 s18, -1
	s_mov_b32 s15, 0
	s_branch .LBB4_57
.LBB4_55:                               ;   in Loop: Header=BB4_57 Depth=2
	s_wait_xcnt 0x0
	s_or_b32 exec_lo, exec_lo, s40
	v_add_nc_u64_e32 v[86:87], 2, v[86:87]
	global_wb scope:SCOPE_SYS
	s_wait_storecnt 0x0
	s_wait_loadcnt_dscnt 0x0
	flat_store_b64 v[20:21], v[86:87] scope:SCOPE_SYS
.LBB4_56:                               ;   in Loop: Header=BB4_57 Depth=2
	s_wait_xcnt 0x0
	s_or_b32 exec_lo, exec_lo, s13
	v_dual_add_nc_u32 v10, v8, v10 :: v_dual_mov_b32 v2, s27
	s_xor_b32 s13, s18, -1
	s_mov_b32 s18, 0
	s_mov_b32 s27, 2
	s_delay_alu instid0(VALU_DEP_1) | instskip(SKIP_1) | instid1(SALU_CYCLE_1)
	v_cmp_ge_i32_e32 vcc_lo, v10, v40
	s_or_b32 s13, s13, vcc_lo
	s_and_b32 s13, exec_lo, s13
	s_delay_alu instid0(SALU_CYCLE_1) | instskip(NEXT) | instid1(SALU_CYCLE_1)
	s_or_b32 s15, s13, s15
	s_and_not1_b32 exec_lo, exec_lo, s15
	s_cbranch_execz .LBB4_196
.LBB4_57:                               ;   Parent Loop BB4_47 Depth=1
                                        ; =>  This Loop Header: Depth=2
                                        ;       Child Loop BB4_65 Depth 3
                                        ;       Child Loop BB4_89 Depth 3
                                        ;       Child Loop BB4_110 Depth 3
                                        ;       Child Loop BB4_136 Depth 3
                                        ;       Child Loop BB4_141 Depth 3
                                        ;       Child Loop BB4_149 Depth 3
                                        ;       Child Loop BB4_154 Depth 3
                                        ;       Child Loop BB4_163 Depth 3
                                        ;       Child Loop BB4_182 Depth 3
	s_and_saveexec_b32 s13, s0
	s_cbranch_execz .LBB4_59
; %bb.58:                               ;   in Loop: Header=BB4_57 Depth=2
	s_trap 2
	ds_load_b64 v[102:103], v0
	v_ashrrev_i32_e32 v11, 31, v10
	s_wait_dscnt 0x0
	v_lshl_add_u64 v[102:103], v[98:99], 2, v[102:103]
	s_delay_alu instid0(VALU_DEP_1) | instskip(NEXT) | instid1(VALU_DEP_1)
	v_lshl_add_u64 v[102:103], v[100:101], 2, v[102:103]
	v_lshl_add_u64 v[102:103], v[10:11], 2, v[102:103]
	ds_store_b64 v0, v[102:103]
	ds_store_b64 v0, v[34:35]
.LBB4_59:                               ;   in Loop: Header=BB4_57 Depth=2
	s_or_b32 exec_lo, exec_lo, s13
	v_sub_nc_u32_e32 v2, v40, v10
	v_and_b32_e32 v9, 8, v30
	s_mov_b32 s40, exec_lo
	s_delay_alu instid0(VALU_DEP_2) | instskip(NEXT) | instid1(VALU_DEP_2)
	v_min_i32_e32 v8, v8, v2
	v_cmpx_ne_u32_e32 0, v9
	s_cbranch_execz .LBB4_81
; %bb.60:                               ;   in Loop: Header=BB4_57 Depth=2
	s_wait_loadcnt_dscnt 0x1
	v_add_nc_u64_e32 v[112:113], 8, v[28:29]
	v_add_nc_u64_e32 v[102:103], 2, v[86:87]
	s_mov_b32 s41, exec_lo
	s_delay_alu instid0(VALU_DEP_1)
	v_cmpx_lt_u64_e64 v[112:113], v[102:103]
	s_cbranch_execz .LBB4_72
; %bb.61:                               ;   in Loop: Header=BB4_57 Depth=2
	v_and_b32_e32 v2, 64, v30
	s_mov_b32 s60, 0
	s_mov_b32 s72, 0
                                        ; implicit-def: $sgpr61
                                        ; implicit-def: $sgpr62
                                        ; implicit-def: $sgpr63
	s_delay_alu instid0(VALU_DEP_1)
	v_cmp_eq_u32_e32 vcc_lo, 0, v2
	s_branch .LBB4_65
.LBB4_62:                               ;   in Loop: Header=BB4_65 Depth=3
	s_wait_loadcnt_dscnt 0x0
	v_add_nc_u64_e32 v[112:113], 8, v[28:29]
	s_or_b32 s75, s75, exec_lo
	s_delay_alu instid0(VALU_DEP_1)
	v_cmp_ge_u64_e64 s13, v[112:113], v[102:103]
	s_or_not1_b32 s74, s13, exec_lo
.LBB4_63:                               ;   in Loop: Header=BB4_65 Depth=3
	s_or_b32 exec_lo, exec_lo, s77
	s_delay_alu instid0(SALU_CYCLE_1)
	s_and_not1_b32 s13, s63, exec_lo
	s_and_b32 s63, s75, exec_lo
	s_and_not1_b32 s62, s62, exec_lo
	s_and_b32 s74, s74, exec_lo
	s_or_b32 s63, s13, s63
	s_or_b32 s62, s62, s74
.LBB4_64:                               ;   in Loop: Header=BB4_65 Depth=3
	s_or_b32 exec_lo, exec_lo, s73
	s_delay_alu instid0(SALU_CYCLE_1) | instskip(NEXT) | instid1(SALU_CYCLE_1)
	s_and_b32 s13, exec_lo, s62
	s_or_b32 s60, s13, s60
	s_and_not1_b32 s13, s61, exec_lo
	s_and_b32 s61, s63, exec_lo
	s_delay_alu instid0(SALU_CYCLE_1)
	s_or_b32 s61, s13, s61
	s_and_not1_b32 exec_lo, exec_lo, s60
	s_cbranch_execz .LBB4_69
.LBB4_65:                               ;   Parent Loop BB4_47 Depth=1
                                        ;     Parent Loop BB4_57 Depth=2
                                        ; =>    This Inner Loop Header: Depth=3
	s_sleep 1
	s_wait_loadcnt_dscnt 0x0
	flat_load_b64 v[28:29], v[20:21] scope:SCOPE_SYS
	s_or_b32 s63, s63, exec_lo
	s_or_b32 s62, s62, exec_lo
                                        ; implicit-def: $vgpr2
	s_wait_xcnt 0x0
	s_and_saveexec_b32 s73, vcc_lo
	s_cbranch_execz .LBB4_64
; %bb.66:                               ;   in Loop: Header=BB4_65 Depth=3
	s_cmp_lt_i32 s72, 0x270f
	s_mov_b32 s74, -1
	s_cselect_b32 s76, -1, 0
	s_cmp_gt_i32 s72, 0x270e
	s_cbranch_scc0 .LBB4_68
; %bb.67:                               ;   in Loop: Header=BB4_65 Depth=3
	s_trap 2
	ds_load_b64 v[112:113], v0
	s_and_not1_b32 s72, s76, exec_lo
	s_mov_b32 s75, 0
	s_wait_storecnt 0x0
	s_wait_loadcnt_dscnt 0x0
	flat_load_b32 v2, v[112:113] scope:SCOPE_SYS
	s_wait_loadcnt_dscnt 0x0
	global_inv scope:SCOPE_SYS
	v_cmp_eq_u32_e64 s13, 0, v2
	s_and_b32 s13, s13, exec_lo
	s_delay_alu instid0(SALU_CYCLE_1)
	s_or_b32 s76, s72, s13
	s_mov_b32 s72, 0
	s_and_saveexec_b32 s77, s76
	s_cbranch_execz .LBB4_63
	s_branch .LBB4_62
.LBB4_68:                               ;   in Loop: Header=BB4_65 Depth=3
	s_add_co_i32 s72, s72, 1
	s_mov_b32 s75, -1
                                        ; implicit-def: $vgpr2
	s_and_saveexec_b32 s77, s76
	s_cbranch_execz .LBB4_63
	s_branch .LBB4_62
.LBB4_69:                               ;   in Loop: Header=BB4_57 Depth=2
	s_or_b32 exec_lo, exec_lo, s60
	s_xor_b32 s13, s61, -1
	s_delay_alu instid0(SALU_CYCLE_1) | instskip(NEXT) | instid1(SALU_CYCLE_1)
	s_and_saveexec_b32 s60, s13
	s_xor_b32 s13, exec_lo, s60
	s_cbranch_execz .LBB4_71
; %bb.70:                               ;   in Loop: Header=BB4_57 Depth=2
	v_or_b32_e32 v30, 64, v30
	s_wait_storecnt 0x0
	s_wait_loadcnt_dscnt 0x0
	ds_store_b32 v0, v2
	s_trap 2
.LBB4_71:                               ;   in Loop: Header=BB4_57 Depth=2
	s_or_b32 exec_lo, exec_lo, s13
.LBB4_72:                               ;   in Loop: Header=BB4_57 Depth=2
	s_delay_alu instid0(SALU_CYCLE_1) | instskip(SKIP_4) | instid1(VALU_DEP_1)
	s_or_b32 exec_lo, exec_lo, s41
	v_and_b32_e32 v2, 0x100, v30
	s_mov_b32 s41, 0
	s_mov_b32 s13, exec_lo
	;;#ASMSTART
	s_wakeup
	;;#ASMEND
                                        ; implicit-def: $vgpr112_vgpr113
	v_cmpx_ne_u32_e32 0, v2
	s_xor_b32 s13, exec_lo, s13
	s_cbranch_execz .LBB4_93
; %bb.73:                               ;   in Loop: Header=BB4_57 Depth=2
	v_dual_ashrrev_i32 v9, 31, v8 :: v_dual_bitop2_b32 v2, 7, v86 bitop3:0x40
	s_mov_b32 s41, -1
	s_mov_b32 s60, exec_lo
	s_delay_alu instid0(VALU_DEP_1) | instskip(NEXT) | instid1(VALU_DEP_2)
	v_mad_nc_u64_u32 v[86:87], v2, 24, v[6:7]
	v_lshlrev_b64_e32 v[112:113], 2, v[8:9]
	s_clause 0x1
	flat_load_b32 v11, v[86:87]
	flat_store_b64 v[86:87], v[112:113] offset:8
                                        ; implicit-def: $vgpr112_vgpr113
	s_wait_loadcnt_dscnt 0x1
	v_cmpx_eq_u32_e32 1, v11
	s_cbranch_execz .LBB4_75
; %bb.74:                               ;   in Loop: Header=BB4_57 Depth=2
	flat_load_b32 v86, v[86:87] offset:4 scope:SCOPE_SYS
	s_xor_b32 s41, exec_lo, -1
	s_wait_loadcnt_dscnt 0x0
	v_ashrrev_i32_e32 v87, 31, v86
	s_delay_alu instid0(VALU_DEP_1)
	v_lshrrev_b64 v[112:113], 2, v[86:87]
.LBB4_75:                               ;   in Loop: Header=BB4_57 Depth=2
	s_or_b32 exec_lo, exec_lo, s60
	s_delay_alu instid0(SALU_CYCLE_1)
	s_and_b32 s41, s41, exec_lo
                                        ; implicit-def: $vgpr86_vgpr87
	s_and_not1_saveexec_b32 s13, s13
	s_cbranch_execnz .LBB4_94
.LBB4_76:                               ;   in Loop: Header=BB4_57 Depth=2
	s_or_b32 exec_lo, exec_lo, s13
	s_and_saveexec_b32 s13, s41
.LBB4_77:                               ;   in Loop: Header=BB4_57 Depth=2
	v_mul_u64_e32 v[112:113], v[2:3], v[22:23]
.LBB4_78:                               ;   in Loop: Header=BB4_57 Depth=2
	s_or_b32 exec_lo, exec_lo, s13
	v_and_b32_e32 v2, 0x2000, v30
	s_delay_alu instid0(VALU_DEP_2)
	v_lshl_add_u64 v[86:87], v[112:113], 2, v[24:25]
	s_mov_b32 s13, exec_lo
	ds_store_b64 v0, v[86:87] offset:784
	v_cmpx_ne_u32_e32 0, v2
	s_cbranch_execz .LBB4_80
; %bb.79:                               ;   in Loop: Header=BB4_57 Depth=2
	ds_load_b64 v[86:87], v0 offset:872
	s_wait_dscnt 0x0
	v_add_nc_u64_e32 v[86:87], 1, v[86:87]
	ds_store_b64 v0, v[86:87] offset:872
.LBB4_80:                               ;   in Loop: Header=BB4_57 Depth=2
	s_or_b32 exec_lo, exec_lo, s13
	v_mov_b64_e32 v[86:87], v[102:103]
.LBB4_81:                               ;   in Loop: Header=BB4_57 Depth=2
	s_or_b32 exec_lo, exec_lo, s40
	s_and_saveexec_b32 s13, s2
	s_cbranch_execz .LBB4_102
; %bb.82:                               ;   in Loop: Header=BB4_57 Depth=2
	s_and_saveexec_b32 s40, s3
	s_delay_alu instid0(SALU_CYCLE_1)
	s_xor_b32 s40, exec_lo, s40
	s_cbranch_execz .LBB4_99
; %bb.83:                               ;   in Loop: Header=BB4_57 Depth=2
	s_and_saveexec_b32 s41, s6
	s_cbranch_execz .LBB4_98
; %bb.84:                               ;   in Loop: Header=BB4_57 Depth=2
	s_mov_b32 s61, exec_lo
	s_mov_b32 s60, exec_lo
	v_mbcnt_lo_u32_b32 v2, s61, 0
	global_wb scope:SCOPE_DEV
	s_wait_storecnt 0x0
	s_wait_loadcnt_dscnt 0x0
	global_inv scope:SCOPE_DEV
	v_cmpx_eq_u32_e32 0, v2
	s_cbranch_execz .LBB4_86
; %bb.85:                               ;   in Loop: Header=BB4_57 Depth=2
	s_bcnt1_i32_b32 s61, s61
	s_delay_alu instid0(SALU_CYCLE_1)
	v_mov_b32_e32 v2, s61
	s_wait_loadcnt 0x0
	ds_add_u64 v0, v[2:3]
	s_trap 2
.LBB4_86:                               ;   in Loop: Header=BB4_57 Depth=2
	s_or_b32 exec_lo, exec_lo, s60
	s_trap 2
	ds_load_b64 v[102:103], v0
	s_wait_dscnt 0x0
	v_add_nc_u64_e32 v[12:13], v[12:13], v[32:33]
	s_mov_b32 s60, exec_lo
	s_delay_alu instid0(VALU_DEP_1)
	v_cmpx_lt_u64_e64 v[102:103], v[12:13]
	s_cbranch_execz .LBB4_97
; %bb.87:                               ;   in Loop: Header=BB4_57 Depth=2
	s_mov_b32 s61, 0
	s_mov_b32 s72, 0
                                        ; implicit-def: $sgpr62
                                        ; implicit-def: $sgpr63
	s_branch .LBB4_89
.LBB4_88:                               ;   in Loop: Header=BB4_89 Depth=3
	s_or_b32 exec_lo, exec_lo, s74
	s_delay_alu instid0(SALU_CYCLE_1) | instskip(NEXT) | instid1(SALU_CYCLE_1)
	s_and_b32 s73, exec_lo, s75
	s_or_b32 s61, s73, s61
	s_and_not1_b32 s62, s62, exec_lo
	s_and_b32 s73, s63, exec_lo
	s_delay_alu instid0(SALU_CYCLE_1)
	s_or_b32 s62, s62, s73
	s_and_not1_b32 exec_lo, exec_lo, s61
	s_cbranch_execz .LBB4_95
.LBB4_89:                               ;   Parent Loop BB4_47 Depth=1
                                        ;     Parent Loop BB4_57 Depth=2
                                        ; =>    This Inner Loop Header: Depth=3
	s_add_co_i32 s72, s72, 1
	s_delay_alu instid0(SALU_CYCLE_1) | instskip(SKIP_1) | instid1(SALU_CYCLE_1)
	s_cmp_lg_u32 s72, 0x2710
	s_cselect_b32 s73, -1, 0
	s_and_b32 vcc_lo, exec_lo, s73
	s_cbranch_vccz .LBB4_91
; %bb.90:                               ;   in Loop: Header=BB4_89 Depth=3
	s_mov_b32 s75, -1
	s_or_b32 s63, s63, exec_lo
	s_and_saveexec_b32 s74, s73
	s_cbranch_execz .LBB4_88
	s_branch .LBB4_92
.LBB4_91:                               ;   in Loop: Header=BB4_89 Depth=3
	s_trap 2
	ds_load_b64 v[102:103], v0
	s_and_not1_b32 s73, s73, exec_lo
	s_mov_b32 s72, 0
	s_wait_loadcnt_dscnt 0x0
	flat_load_b32 v2, v[102:103] scope:SCOPE_SYS
	s_wait_loadcnt_dscnt 0x0
	global_inv scope:SCOPE_SYS
	v_cmp_eq_u32_e32 vcc_lo, 0, v2
	s_and_b32 s74, vcc_lo, exec_lo
	s_delay_alu instid0(SALU_CYCLE_1)
	s_or_b32 s73, s73, s74
	s_mov_b32 s75, -1
	s_or_b32 s63, s63, exec_lo
	s_and_saveexec_b32 s74, s73
	s_cbranch_execz .LBB4_88
.LBB4_92:                               ;   in Loop: Header=BB4_89 Depth=3
	s_sleep 1
	s_trap 2
	ds_load_b64 v[102:103], v0
	s_wait_dscnt 0x0
	s_and_not1_b32 s63, s63, exec_lo
	v_cmp_ge_u64_e32 vcc_lo, v[102:103], v[12:13]
	s_or_not1_b32 s75, vcc_lo, exec_lo
	s_branch .LBB4_88
.LBB4_93:                               ;   in Loop: Header=BB4_57 Depth=2
	s_and_not1_saveexec_b32 s13, s13
	s_cbranch_execz .LBB4_76
.LBB4_94:                               ;   in Loop: Header=BB4_57 Depth=2
	v_and_b32_e32 v2, 7, v86
	s_or_b32 s41, s41, exec_lo
	s_or_b32 exec_lo, exec_lo, s13
	s_and_saveexec_b32 s13, s41
	s_cbranch_execnz .LBB4_77
	s_branch .LBB4_78
.LBB4_95:                               ;   in Loop: Header=BB4_57 Depth=2
	s_or_b32 exec_lo, exec_lo, s61
	s_and_saveexec_b32 s61, s62
	s_delay_alu instid0(SALU_CYCLE_1)
	s_xor_b32 s61, exec_lo, s61
	s_cbranch_execz .LBB4_97
; %bb.96:                               ;   in Loop: Header=BB4_57 Depth=2
	ds_store_b32 v0, v57
	s_trap 2
.LBB4_97:                               ;   in Loop: Header=BB4_57 Depth=2
	s_or_b32 exec_lo, exec_lo, s60
	;;#ASMSTART
	s_wakeup
	;;#ASMEND
.LBB4_98:                               ;   in Loop: Header=BB4_57 Depth=2
	s_or_b32 exec_lo, exec_lo, s41
.LBB4_99:                               ;   in Loop: Header=BB4_57 Depth=2
	s_and_not1_saveexec_b32 s40, s40
	s_cbranch_execz .LBB4_101
; %bb.100:                              ;   in Loop: Header=BB4_57 Depth=2
	global_wb scope:SCOPE_DEV
	s_wait_storecnt 0x0
	s_wait_loadcnt_dscnt 0x0
	global_inv scope:SCOPE_DEV
	s_barrier_signal -1
	s_barrier_wait -1
.LBB4_101:                              ;   in Loop: Header=BB4_57 Depth=2
	s_or_b32 exec_lo, exec_lo, s40
.LBB4_102:                              ;   in Loop: Header=BB4_57 Depth=2
	s_delay_alu instid0(SALU_CYCLE_1) | instskip(SKIP_4) | instid1(VALU_DEP_1)
	s_or_b32 exec_lo, exec_lo, s13
	s_trap 2
	ds_load_b32 v9, v0
	v_and_b32_e32 v2, 0x4000, v30
	s_xor_b32 s13, s1, -1
	v_cmp_ne_u32_e32 vcc_lo, 0, v2
	s_and_b32 s40, s13, vcc_lo
	s_delay_alu instid0(SALU_CYCLE_1)
	s_and_saveexec_b32 s13, s40
	s_cbranch_execz .LBB4_121
; %bb.103:                              ;   in Loop: Header=BB4_57 Depth=2
	s_and_saveexec_b32 s40, s3
	s_delay_alu instid0(SALU_CYCLE_1)
	s_xor_b32 s40, exec_lo, s40
	s_cbranch_execz .LBB4_118
; %bb.104:                              ;   in Loop: Header=BB4_57 Depth=2
	s_and_saveexec_b32 s41, s6
	s_cbranch_execz .LBB4_117
; %bb.105:                              ;   in Loop: Header=BB4_57 Depth=2
	s_mov_b32 s61, exec_lo
	s_mov_b32 s60, exec_lo
	v_mbcnt_lo_u32_b32 v2, s61, 0
	global_wb scope:SCOPE_DEV
	s_wait_storecnt 0x0
	s_wait_loadcnt_dscnt 0x0
	global_inv scope:SCOPE_DEV
	v_cmpx_eq_u32_e32 0, v2
	s_cbranch_execz .LBB4_107
; %bb.106:                              ;   in Loop: Header=BB4_57 Depth=2
	s_bcnt1_i32_b32 s61, s61
	s_delay_alu instid0(SALU_CYCLE_1)
	v_mov_b32_e32 v2, s61
	s_wait_loadcnt 0x0
	ds_add_u64 v0, v[2:3]
	s_trap 2
.LBB4_107:                              ;   in Loop: Header=BB4_57 Depth=2
	s_or_b32 exec_lo, exec_lo, s60
	s_trap 2
	ds_load_b64 v[102:103], v0
	s_wait_dscnt 0x0
	v_add_nc_u64_e32 v[12:13], v[12:13], v[32:33]
	s_mov_b32 s60, exec_lo
	s_delay_alu instid0(VALU_DEP_1)
	v_cmpx_lt_u64_e64 v[102:103], v[12:13]
	s_cbranch_execz .LBB4_116
; %bb.108:                              ;   in Loop: Header=BB4_57 Depth=2
	s_mov_b32 s61, 0
	s_mov_b32 s72, 0
                                        ; implicit-def: $sgpr62
                                        ; implicit-def: $sgpr63
	s_branch .LBB4_110
.LBB4_109:                              ;   in Loop: Header=BB4_110 Depth=3
	s_or_b32 exec_lo, exec_lo, s74
	s_delay_alu instid0(SALU_CYCLE_1) | instskip(NEXT) | instid1(SALU_CYCLE_1)
	s_and_b32 s73, exec_lo, s75
	s_or_b32 s61, s73, s61
	s_and_not1_b32 s62, s62, exec_lo
	s_and_b32 s73, s63, exec_lo
	s_delay_alu instid0(SALU_CYCLE_1)
	s_or_b32 s62, s62, s73
	s_and_not1_b32 exec_lo, exec_lo, s61
	s_cbranch_execz .LBB4_114
.LBB4_110:                              ;   Parent Loop BB4_47 Depth=1
                                        ;     Parent Loop BB4_57 Depth=2
                                        ; =>    This Inner Loop Header: Depth=3
	s_add_co_i32 s72, s72, 1
	s_delay_alu instid0(SALU_CYCLE_1) | instskip(SKIP_1) | instid1(SALU_CYCLE_1)
	s_cmp_lg_u32 s72, 0x2710
	s_cselect_b32 s73, -1, 0
	s_and_b32 vcc_lo, exec_lo, s73
	s_cbranch_vccz .LBB4_112
; %bb.111:                              ;   in Loop: Header=BB4_110 Depth=3
	s_mov_b32 s75, -1
	s_or_b32 s63, s63, exec_lo
	s_and_saveexec_b32 s74, s73
	s_cbranch_execz .LBB4_109
	s_branch .LBB4_113
.LBB4_112:                              ;   in Loop: Header=BB4_110 Depth=3
	s_trap 2
	ds_load_b64 v[102:103], v0
	s_and_not1_b32 s73, s73, exec_lo
	s_mov_b32 s72, 0
	s_wait_loadcnt_dscnt 0x0
	flat_load_b32 v2, v[102:103] scope:SCOPE_SYS
	s_wait_loadcnt_dscnt 0x0
	global_inv scope:SCOPE_SYS
	v_cmp_eq_u32_e32 vcc_lo, 0, v2
	s_and_b32 s74, vcc_lo, exec_lo
	s_delay_alu instid0(SALU_CYCLE_1)
	s_or_b32 s73, s73, s74
	s_mov_b32 s75, -1
	s_or_b32 s63, s63, exec_lo
	s_and_saveexec_b32 s74, s73
	s_cbranch_execz .LBB4_109
.LBB4_113:                              ;   in Loop: Header=BB4_110 Depth=3
	s_sleep 1
	s_trap 2
	ds_load_b64 v[102:103], v0
	s_wait_dscnt 0x0
	s_and_not1_b32 s63, s63, exec_lo
	v_cmp_ge_u64_e32 vcc_lo, v[102:103], v[12:13]
	s_or_not1_b32 s75, vcc_lo, exec_lo
	s_branch .LBB4_109
.LBB4_114:                              ;   in Loop: Header=BB4_57 Depth=2
	s_or_b32 exec_lo, exec_lo, s61
	s_and_saveexec_b32 s61, s62
	s_delay_alu instid0(SALU_CYCLE_1)
	s_xor_b32 s61, exec_lo, s61
	s_cbranch_execz .LBB4_116
; %bb.115:                              ;   in Loop: Header=BB4_57 Depth=2
	ds_store_b32 v0, v57
	s_trap 2
.LBB4_116:                              ;   in Loop: Header=BB4_57 Depth=2
	s_or_b32 exec_lo, exec_lo, s60
	;;#ASMSTART
	s_wakeup
	;;#ASMEND
.LBB4_117:                              ;   in Loop: Header=BB4_57 Depth=2
	s_or_b32 exec_lo, exec_lo, s41
.LBB4_118:                              ;   in Loop: Header=BB4_57 Depth=2
	s_and_not1_saveexec_b32 s40, s40
	s_cbranch_execz .LBB4_120
; %bb.119:                              ;   in Loop: Header=BB4_57 Depth=2
	global_wb scope:SCOPE_DEV
	s_wait_storecnt 0x0
	s_wait_loadcnt_dscnt 0x0
	global_inv scope:SCOPE_DEV
	s_barrier_signal -1
	s_barrier_wait -1
.LBB4_120:                              ;   in Loop: Header=BB4_57 Depth=2
	s_or_b32 exec_lo, exec_lo, s40
.LBB4_121:                              ;   in Loop: Header=BB4_57 Depth=2
	s_delay_alu instid0(SALU_CYCLE_1)
	s_or_b32 exec_lo, exec_lo, s13
	s_trap 2
	ds_load_b64 v[102:103], v0
	s_wait_dscnt 0x0
	v_cmp_eq_u64_e32 vcc_lo, 0, v[102:103]
	s_cbranch_vccnz .LBB4_129
; %bb.122:                              ;   in Loop: Header=BB4_57 Depth=2
	s_trap 2
	ds_load_b64 v[112:113], v0
	s_wait_dscnt 0x0
	v_cmp_eq_u64_e32 vcc_lo, 0, v[112:113]
	s_cbranch_vccnz .LBB4_129
; %bb.123:                              ;   in Loop: Header=BB4_57 Depth=2
	s_mov_b32 s13, -1
	s_and_saveexec_b32 s40, s7
	s_cbranch_execz .LBB4_125
; %bb.124:                              ;   in Loop: Header=BB4_57 Depth=2
	ds_load_b32 v2, v0 offset:720
	s_wait_dscnt 0x0
	v_and_b32_e32 v2, 15, v2
	s_delay_alu instid0(VALU_DEP_1)
	v_cmp_eq_u32_e32 vcc_lo, 0, v2
	s_or_not1_b32 s13, vcc_lo, exec_lo
.LBB4_125:                              ;   in Loop: Header=BB4_57 Depth=2
	s_or_b32 exec_lo, exec_lo, s40
	s_and_saveexec_b32 s40, s11
	s_cbranch_execz .LBB4_127
; %bb.126:                              ;   in Loop: Header=BB4_57 Depth=2
	ds_load_b32 v2, v0 offset:784
	s_wait_dscnt 0x0
	v_and_b32_e32 v2, 15, v2
	s_delay_alu instid0(VALU_DEP_1) | instskip(SKIP_3) | instid1(SALU_CYCLE_1)
	v_cmp_eq_u32_e32 vcc_lo, 0, v2
	s_and_b32 s41, s13, vcc_lo
	s_and_not1_b32 s13, s13, exec_lo
	s_and_b32 s41, s41, exec_lo
	s_or_b32 s13, s13, s41
.LBB4_127:                              ;   in Loop: Header=BB4_57 Depth=2
	s_or_b32 exec_lo, exec_lo, s40
	v_cmp_eq_u32_e32 vcc_lo, 0, v9
	s_xor_b32 s13, s13, -1
	s_mov_b32 s41, -1
	v_cndmask_b32_e64 v11, 0, 1, s13
	v_cndmask_b32_e32 v2, 0, v8, vcc_lo
	s_delay_alu instid0(VALU_DEP_2) | instskip(NEXT) | instid1(VALU_DEP_2)
	v_cmp_ne_u32_e32 vcc_lo, 0, v11
	v_dual_mov_b32 v11, 0 :: v_dual_lshlrev_b32 v9, 2, v2
	s_cbranch_vccz .LBB4_134
; %bb.128:                              ;   in Loop: Header=BB4_57 Depth=2
	v_dual_mov_b32 v41, v0 :: v_dual_mov_b32 v114, v60
	s_and_saveexec_b32 s13, s41
	s_cbranch_execnz .LBB4_147
	s_branch .LBB4_155
.LBB4_129:                              ;   in Loop: Header=BB4_57 Depth=2
	s_mov_b32 s13, 0
	s_and_saveexec_b32 s40, s2
	s_cbranch_execnz .LBB4_156
.LBB4_130:                              ;   in Loop: Header=BB4_57 Depth=2
	s_or_b32 exec_lo, exec_lo, s40
                                        ; implicit-def: $vgpr2
	s_and_saveexec_b32 s40, s10
	s_delay_alu instid0(SALU_CYCLE_1)
	s_xor_b32 s40, exec_lo, s40
	s_cbranch_execz .LBB4_174
.LBB4_131:                              ;   in Loop: Header=BB4_57 Depth=2
	v_and_b32_e32 v2, 16, v30
	s_delay_alu instid0(VALU_DEP_1) | instskip(SKIP_2) | instid1(SALU_CYCLE_1)
	v_cmp_ne_u32_e32 vcc_lo, 0, v2
	v_and_b32_e32 v2, 16, v30
	s_and_b32 s41, vcc_lo, s13
	s_and_saveexec_b32 s13, s41
	s_cbranch_execz .LBB4_133
; %bb.132:                              ;   in Loop: Header=BB4_57 Depth=2
	v_mov_b32_e32 v2, 1
	global_wb scope:SCOPE_SYS
	s_wait_storecnt 0x0
	s_wait_loadcnt_dscnt 0x0
	global_inv scope:SCOPE_SYS
.LBB4_133:                              ;   in Loop: Header=BB4_57 Depth=2
	s_or_b32 exec_lo, exec_lo, s13
	s_and_not1_saveexec_b32 s13, s40
	s_cbranch_execz .LBB4_193
	s_branch .LBB4_175
.LBB4_134:                              ;   in Loop: Header=BB4_57 Depth=2
	s_delay_alu instid0(VALU_DEP_1) | instskip(SKIP_1) | instid1(VALU_DEP_1)
	v_ashrrev_i32_e32 v11, 31, v9
	s_mov_b32 s13, exec_lo
	v_lshrrev_b32_e32 v11, 21, v11
	s_delay_alu instid0(VALU_DEP_1) | instskip(NEXT) | instid1(VALU_DEP_1)
	v_add_nc_u32_e32 v11, v9, v11
	v_ashrrev_i32_e32 v11, 11, v11
	s_delay_alu instid0(VALU_DEP_1) | instskip(NEXT) | instid1(VALU_DEP_1)
	v_sub_nc_u32_e32 v118, v11, v60
	v_cmpx_lt_i32_e32 0, v118
	s_cbranch_execz .LBB4_138
; %bb.135:                              ;   in Loop: Header=BB4_57 Depth=2
	v_mov_b64_e32 v[114:115], v[112:113]
	v_mov_b64_e32 v[116:117], v[102:103]
	s_mov_b32 s40, 0
.LBB4_136:                              ;   Parent Loop BB4_47 Depth=1
                                        ;     Parent Loop BB4_57 Depth=2
                                        ; =>    This Inner Loop Header: Depth=3
	s_delay_alu instid0(VALU_DEP_1)
	v_add_nc_u64_e32 v[46:47], v[70:71], v[116:117]
	v_sub_nc_u32_e32 v118, v118, v32
	v_add_nc_u64_e32 v[116:117], v[116:117], v[48:49]
	s_clause 0x3
	global_load_b128 v[42:45], v[46:47], off th:TH_LOAD_NT
	global_load_b128 v[72:75], v[46:47], off offset:512 th:TH_LOAD_NT
	global_load_b128 v[76:79], v[46:47], off offset:1024 th:TH_LOAD_NT
	;; [unrolled: 1-line block ×3, first 2 shown]
	s_wait_xcnt 0x0
	v_add_nc_u64_e32 v[46:47], v[70:71], v[114:115]
	v_cmp_gt_i32_e32 vcc_lo, 1, v118
	v_add_nc_u64_e32 v[114:115], v[114:115], v[48:49]
	s_wait_loadcnt 0x3
	global_store_b128 v[46:47], v[42:45], off th:TH_STORE_NT
	s_wait_loadcnt 0x2
	global_store_b128 v[46:47], v[72:75], off offset:512 th:TH_STORE_NT
	s_wait_loadcnt 0x1
	global_store_b128 v[46:47], v[76:79], off offset:1024 th:TH_STORE_NT
	;; [unrolled: 2-line block ×3, first 2 shown]
	s_or_b32 s40, vcc_lo, s40
	s_wait_xcnt 0x0
	s_and_not1_b32 exec_lo, exec_lo, s40
	s_cbranch_execnz .LBB4_136
; %bb.137:                              ;   in Loop: Header=BB4_57 Depth=2
	s_or_b32 exec_lo, exec_lo, s40
.LBB4_138:                              ;   in Loop: Header=BB4_57 Depth=2
	s_delay_alu instid0(SALU_CYCLE_1) | instskip(SKIP_3) | instid1(VALU_DEP_1)
	s_or_b32 exec_lo, exec_lo, s13
	v_dual_mov_b32 v11, 0 :: v_dual_lshlrev_b32 v116, 11, v11
	s_mov_b32 s41, 0
	s_mov_b32 s40, exec_lo
                                        ; implicit-def: $vgpr41
                                        ; implicit-def: $vgpr114
	v_cmpx_ne_u32_e64 v9, v116
	s_cbranch_execz .LBB4_146
; %bb.139:                              ;   in Loop: Header=BB4_57 Depth=2
	v_dual_lshlrev_b32 v11, 5, v118 :: v_dual_sub_nc_u32 v115, v9, v116
	s_mov_b32 s41, exec_lo
	s_delay_alu instid0(VALU_DEP_1) | instskip(NEXT) | instid1(VALU_DEP_2)
	v_sub_nc_u32_e32 v11, v61, v11
	v_ashrrev_i32_e32 v117, 31, v115
	s_delay_alu instid0(VALU_DEP_1) | instskip(NEXT) | instid1(VALU_DEP_1)
	v_dual_ashrrev_i32 v114, 31, v11 :: v_dual_lshrrev_b32 v117, 23, v117
	v_lshrrev_b32_e32 v114, 27, v114
	s_delay_alu instid0(VALU_DEP_1) | instskip(NEXT) | instid1(VALU_DEP_1)
	v_add_nc_u32_e32 v114, v11, v114
	v_dual_add_nc_u32 v41, v115, v117 :: v_dual_ashrrev_i32 v42, 5, v114
	v_and_b32_e32 v118, 0xffffffe0, v114
	s_delay_alu instid0(VALU_DEP_2) | instskip(NEXT) | instid1(VALU_DEP_2)
	v_and_b32_e32 v117, 0xfffffe00, v41
	v_dual_ashrrev_i32 v41, 9, v41 :: v_dual_sub_nc_u32 v118, v11, v118
	s_delay_alu instid0(VALU_DEP_1) | instskip(NEXT) | instid1(VALU_DEP_1)
	v_dual_sub_nc_u32 v119, v115, v117 :: v_dual_lshlrev_b32 v11, 4, v118
	v_cmp_lt_i32_e32 vcc_lo, 15, v119
	s_delay_alu instid0(VALU_DEP_2) | instskip(NEXT) | instid1(VALU_DEP_4)
	v_lshl_add_u32 v114, v42, 9, v11
	v_add_co_ci_u32_e64 v41, null, 0, v41, vcc_lo
	s_delay_alu instid0(VALU_DEP_2) | instskip(NEXT) | instid1(VALU_DEP_2)
	v_sub_nc_u32_e32 v11, v115, v114
	v_sub_nc_u32_e32 v42, v41, v42
	s_delay_alu instid0(VALU_DEP_2)
	v_cmpx_lt_i32_e32 15, v11
	s_cbranch_execz .LBB4_143
; %bb.140:                              ;   in Loop: Header=BB4_57 Depth=2
	v_add_nc_u32_e32 v114, v114, v116
	s_mov_b32 s60, 0
	s_delay_alu instid0(VALU_DEP_1)
	v_ashrrev_i32_e32 v115, 31, v114
.LBB4_141:                              ;   Parent Loop BB4_47 Depth=1
                                        ;     Parent Loop BB4_57 Depth=2
                                        ; =>    This Inner Loop Header: Depth=3
	s_delay_alu instid0(VALU_DEP_1) | instskip(SKIP_3) | instid1(VALU_DEP_3)
	v_add_nc_u64_e32 v[44:45], v[102:103], v[114:115]
	v_dual_sub_nc_u32 v11, v11, v50 :: v_dual_sub_nc_u32 v42, v42, v32
	v_add_nc_u64_e32 v[62:63], v[112:113], v[114:115]
	v_add_nc_u64_e32 v[114:115], v[114:115], v[50:51]
	v_cmp_gt_i32_e64 s13, 16, v11
	global_load_b128 v[44:47], v[44:45], off th:TH_LOAD_NT
	s_or_b32 s60, s13, s60
	s_wait_loadcnt 0x0
	global_store_b128 v[62:63], v[44:47], off th:TH_STORE_NT
	s_wait_xcnt 0x0
	s_and_not1_b32 exec_lo, exec_lo, s60
	s_cbranch_execnz .LBB4_141
; %bb.142:                              ;   in Loop: Header=BB4_57 Depth=2
	s_or_b32 exec_lo, exec_lo, s60
.LBB4_143:                              ;   in Loop: Header=BB4_57 Depth=2
	s_delay_alu instid0(SALU_CYCLE_1) | instskip(SKIP_3) | instid1(VALU_DEP_1)
	s_or_b32 exec_lo, exec_lo, s41
	v_dual_mov_b32 v11, 0 :: v_dual_bitop2_b32 v115, 12, v9 bitop3:0x40
	s_mov_b32 s41, 0
	s_mov_b32 s60, exec_lo
                                        ; implicit-def: $vgpr41
                                        ; implicit-def: $vgpr114
	v_cndmask_b32_e32 v9, v119, v115, vcc_lo
	s_delay_alu instid0(VALU_DEP_1)
	v_cmpx_ne_u32_e32 0, v9
	s_cbranch_execz .LBB4_145
; %bb.144:                              ;   in Loop: Header=BB4_57 Depth=2
	v_cmp_lt_i32_e64 s13, 0, v42
	s_mov_b32 s41, exec_lo
	v_dual_sub_nc_u32 v114, v119, v115 :: v_dual_cndmask_b32 v11, 0, v32, s13
	s_delay_alu instid0(VALU_DEP_1) | instskip(NEXT) | instid1(VALU_DEP_2)
	v_cndmask_b32_e32 v114, 0, v114, vcc_lo
	v_sub_nc_u32_e32 v11, v11, v42
	s_delay_alu instid0(VALU_DEP_1) | instskip(NEXT) | instid1(VALU_DEP_1)
	v_lshl_add_u32 v41, v11, 5, v118
	v_ashrrev_i32_e32 v11, 31, v41
	s_delay_alu instid0(VALU_DEP_1) | instskip(NEXT) | instid1(VALU_DEP_1)
	v_lshrrev_b32_e32 v11, 27, v11
	v_add_nc_u32_e32 v115, v41, v11
	v_add3_u32 v11, v117, v116, v114
	s_delay_alu instid0(VALU_DEP_2)
	v_ashrrev_i32_e32 v114, 5, v115
.LBB4_145:                              ;   in Loop: Header=BB4_57 Depth=2
	s_or_b32 exec_lo, exec_lo, s60
	s_delay_alu instid0(SALU_CYCLE_1)
	s_and_b32 s41, s41, exec_lo
.LBB4_146:                              ;   in Loop: Header=BB4_57 Depth=2
	s_or_b32 exec_lo, exec_lo, s40
	s_and_saveexec_b32 s13, s41
	s_cbranch_execz .LBB4_155
.LBB4_147:                              ;   in Loop: Header=BB4_57 Depth=2
	v_ashrrev_i32_e32 v115, 31, v9
	s_mov_b32 s40, exec_lo
	s_delay_alu instid0(VALU_DEP_1) | instskip(NEXT) | instid1(VALU_DEP_1)
	v_lshrrev_b32_e32 v115, 23, v115
	v_add_nc_u32_e32 v115, v9, v115
	s_delay_alu instid0(VALU_DEP_1) | instskip(NEXT) | instid1(VALU_DEP_1)
	v_dual_ashrrev_i32 v44, 9, v115 :: v_dual_ashrrev_i32 v115, 31, v41
	v_dual_sub_nc_u32 v42, v44, v114 :: v_dual_lshrrev_b32 v43, 27, v115
	s_delay_alu instid0(VALU_DEP_1)
	v_cmpx_lt_i32_e32 0, v42
	s_cbranch_execz .LBB4_151
; %bb.148:                              ;   in Loop: Header=BB4_57 Depth=2
	s_delay_alu instid0(VALU_DEP_2) | instskip(SKIP_3) | instid1(VALU_DEP_3)
	v_dual_add_nc_u32 v115, v41, v43 :: v_dual_lshlrev_b32 v114, 9, v114
	v_mov_b64_e32 v[116:117], v[112:113]
	v_mov_b64_e32 v[118:119], v[102:103]
	s_mov_b32 s41, 0
	v_and_b32_e32 v115, 0x3fffffe0, v115
	s_delay_alu instid0(VALU_DEP_1) | instskip(NEXT) | instid1(VALU_DEP_1)
	v_sub_nc_u32_e32 v115, v41, v115
	v_lshlrev_b32_e32 v115, 2, v115
	s_delay_alu instid0(VALU_DEP_1) | instskip(NEXT) | instid1(VALU_DEP_1)
	v_add3_u32 v114, v115, v11, v114
	v_ashrrev_i32_e32 v115, 31, v114
.LBB4_149:                              ;   Parent Loop BB4_47 Depth=1
                                        ;     Parent Loop BB4_57 Depth=2
                                        ; =>    This Inner Loop Header: Depth=3
	s_delay_alu instid0(VALU_DEP_1)
	v_add_nc_u64_e32 v[46:47], v[114:115], v[118:119]
	v_sub_nc_u32_e32 v42, v42, v32
	v_add_nc_u64_e32 v[118:119], v[118:119], v[50:51]
	s_clause 0x3
	flat_load_b32 v45, v[46:47] th:TH_LOAD_NT
	flat_load_b32 v62, v[46:47] offset:128 th:TH_LOAD_NT
	flat_load_b32 v63, v[46:47] offset:256 th:TH_LOAD_NT
	flat_load_b32 v72, v[46:47] offset:384 th:TH_LOAD_NT
	s_wait_xcnt 0x0
	v_add_nc_u64_e32 v[46:47], v[114:115], v[116:117]
	v_cmp_gt_i32_e32 vcc_lo, 1, v42
	v_add_nc_u64_e32 v[116:117], v[116:117], v[50:51]
	s_wait_loadcnt_dscnt 0x303
	flat_store_b32 v[46:47], v45 th:TH_STORE_NT
	s_wait_loadcnt_dscnt 0x203
	flat_store_b32 v[46:47], v62 offset:128 th:TH_STORE_NT
	s_wait_loadcnt_dscnt 0x103
	flat_store_b32 v[46:47], v63 offset:256 th:TH_STORE_NT
	;; [unrolled: 2-line block ×3, first 2 shown]
	s_or_b32 s41, vcc_lo, s41
	s_wait_xcnt 0x0
	s_and_not1_b32 exec_lo, exec_lo, s41
	s_cbranch_execnz .LBB4_149
; %bb.150:                              ;   in Loop: Header=BB4_57 Depth=2
	s_or_b32 exec_lo, exec_lo, s41
.LBB4_151:                              ;   in Loop: Header=BB4_57 Depth=2
	s_delay_alu instid0(SALU_CYCLE_1) | instskip(SKIP_1) | instid1(VALU_DEP_1)
	s_or_b32 exec_lo, exec_lo, s40
	v_lshlrev_b32_e32 v114, 9, v44
	v_cmp_ne_u32_e32 vcc_lo, v9, v114
	s_and_b32 exec_lo, exec_lo, vcc_lo
	s_cbranch_execz .LBB4_155
; %bb.152:                              ;   in Loop: Header=BB4_57 Depth=2
	v_dual_add_nc_u32 v115, v41, v43 :: v_dual_lshlrev_b32 v116, 5, v42
	s_delay_alu instid0(VALU_DEP_1) | instskip(NEXT) | instid1(VALU_DEP_1)
	v_and_b32_e32 v115, 0xffffffe0, v115
	v_sub_nc_u32_e32 v115, v41, v115
	s_delay_alu instid0(VALU_DEP_1) | instskip(NEXT) | instid1(VALU_DEP_1)
	v_sub_nc_u32_e32 v115, v115, v116
	v_ashrrev_i32_e32 v116, 31, v115
	s_delay_alu instid0(VALU_DEP_1) | instskip(NEXT) | instid1(VALU_DEP_1)
	v_lshrrev_b32_e32 v116, 27, v116
	v_add_nc_u32_e32 v116, v115, v116
	s_delay_alu instid0(VALU_DEP_1) | instskip(NEXT) | instid1(VALU_DEP_1)
	v_and_b32_e32 v117, 0x3fffffe0, v116
	v_dual_lshlrev_b32 v116, 2, v116 :: v_dual_sub_nc_u32 v115, v115, v117
	s_delay_alu instid0(VALU_DEP_1) | instskip(NEXT) | instid1(VALU_DEP_2)
	v_and_b32_e32 v116, 0xffffff80, v116
	v_lshlrev_b32_e32 v115, 2, v115
	s_delay_alu instid0(VALU_DEP_1) | instskip(NEXT) | instid1(VALU_DEP_1)
	v_add3_u32 v114, v116, v115, v114
	v_sub_nc_u32_e32 v9, v9, v114
	s_delay_alu instid0(VALU_DEP_1)
	v_cmp_lt_i32_e32 vcc_lo, 3, v9
	s_and_b32 exec_lo, exec_lo, vcc_lo
	s_cbranch_execz .LBB4_155
; %bb.153:                              ;   in Loop: Header=BB4_57 Depth=2
	v_add_nc_u32_e32 v114, v114, v11
	s_mov_b32 s40, 0
	s_delay_alu instid0(VALU_DEP_1)
	v_ashrrev_i32_e32 v115, 31, v114
.LBB4_154:                              ;   Parent Loop BB4_47 Depth=1
                                        ;     Parent Loop BB4_57 Depth=2
                                        ; =>    This Inner Loop Header: Depth=3
	s_delay_alu instid0(VALU_DEP_1) | instskip(SKIP_1) | instid1(VALU_DEP_1)
	v_add_nc_u64_e32 v[116:117], v[102:103], v[114:115]
	v_sub_nc_u32_e32 v9, v9, v52
	v_cmp_gt_i32_e32 vcc_lo, 4, v9
	flat_load_b32 v11, v[116:117] th:TH_LOAD_NT
	s_wait_xcnt 0x0
	v_add_nc_u64_e32 v[116:117], v[112:113], v[114:115]
	v_add_nc_u64_e32 v[114:115], v[114:115], v[52:53]
	s_or_b32 s40, vcc_lo, s40
	s_wait_loadcnt_dscnt 0x0
	flat_store_b32 v[116:117], v11 th:TH_STORE_NT
	s_wait_xcnt 0x0
	s_and_not1_b32 exec_lo, exec_lo, s40
	s_cbranch_execnz .LBB4_154
.LBB4_155:                              ;   in Loop: Header=BB4_57 Depth=2
	s_or_b32 exec_lo, exec_lo, s13
	v_cmp_lt_i32_e64 s13, 0, v2
	s_and_saveexec_b32 s40, s2
	s_cbranch_execz .LBB4_130
.LBB4_156:                              ;   in Loop: Header=BB4_57 Depth=2
	s_and_saveexec_b32 s41, s3
	s_delay_alu instid0(SALU_CYCLE_1)
	s_xor_b32 s41, exec_lo, s41
	s_cbranch_execz .LBB4_171
; %bb.157:                              ;   in Loop: Header=BB4_57 Depth=2
	s_and_saveexec_b32 s60, s6
	s_cbranch_execz .LBB4_170
; %bb.158:                              ;   in Loop: Header=BB4_57 Depth=2
	s_mov_b32 s62, exec_lo
	s_mov_b32 s61, exec_lo
	v_mbcnt_lo_u32_b32 v2, s62, 0
	global_wb scope:SCOPE_DEV
	s_wait_storecnt 0x0
	s_wait_loadcnt_dscnt 0x0
	global_inv scope:SCOPE_DEV
	v_cmpx_eq_u32_e32 0, v2
	s_cbranch_execz .LBB4_160
; %bb.159:                              ;   in Loop: Header=BB4_57 Depth=2
	s_bcnt1_i32_b32 s62, s62
	s_delay_alu instid0(SALU_CYCLE_1)
	v_mov_b32_e32 v2, s62
	s_wait_loadcnt 0x0
	ds_add_u64 v0, v[2:3]
	s_trap 2
.LBB4_160:                              ;   in Loop: Header=BB4_57 Depth=2
	s_or_b32 exec_lo, exec_lo, s61
	s_trap 2
	ds_load_b64 v[102:103], v0
	s_wait_dscnt 0x0
	v_add_nc_u64_e32 v[12:13], v[12:13], v[32:33]
	s_mov_b32 s61, exec_lo
	s_delay_alu instid0(VALU_DEP_1)
	v_cmpx_lt_u64_e64 v[102:103], v[12:13]
	s_cbranch_execz .LBB4_169
; %bb.161:                              ;   in Loop: Header=BB4_57 Depth=2
	s_mov_b32 s62, 0
	s_mov_b32 s73, 0
                                        ; implicit-def: $sgpr63
                                        ; implicit-def: $sgpr72
	s_branch .LBB4_163
.LBB4_162:                              ;   in Loop: Header=BB4_163 Depth=3
	s_or_b32 exec_lo, exec_lo, s75
	s_delay_alu instid0(SALU_CYCLE_1) | instskip(NEXT) | instid1(SALU_CYCLE_1)
	s_and_b32 s74, exec_lo, s76
	s_or_b32 s62, s74, s62
	s_and_not1_b32 s63, s63, exec_lo
	s_and_b32 s74, s72, exec_lo
	s_delay_alu instid0(SALU_CYCLE_1)
	s_or_b32 s63, s63, s74
	s_and_not1_b32 exec_lo, exec_lo, s62
	s_cbranch_execz .LBB4_167
.LBB4_163:                              ;   Parent Loop BB4_47 Depth=1
                                        ;     Parent Loop BB4_57 Depth=2
                                        ; =>    This Inner Loop Header: Depth=3
	s_add_co_i32 s73, s73, 1
	s_delay_alu instid0(SALU_CYCLE_1) | instskip(SKIP_1) | instid1(SALU_CYCLE_1)
	s_cmp_lg_u32 s73, 0x2710
	s_cselect_b32 s74, -1, 0
	s_and_b32 vcc_lo, exec_lo, s74
	s_cbranch_vccz .LBB4_165
; %bb.164:                              ;   in Loop: Header=BB4_163 Depth=3
	s_mov_b32 s76, -1
	s_or_b32 s72, s72, exec_lo
	s_and_saveexec_b32 s75, s74
	s_cbranch_execz .LBB4_162
	s_branch .LBB4_166
.LBB4_165:                              ;   in Loop: Header=BB4_163 Depth=3
	s_trap 2
	ds_load_b64 v[102:103], v0
	s_and_not1_b32 s74, s74, exec_lo
	s_mov_b32 s73, 0
	s_wait_loadcnt_dscnt 0x0
	flat_load_b32 v2, v[102:103] scope:SCOPE_SYS
	s_wait_loadcnt_dscnt 0x0
	global_inv scope:SCOPE_SYS
	v_cmp_eq_u32_e32 vcc_lo, 0, v2
	s_and_b32 s75, vcc_lo, exec_lo
	s_delay_alu instid0(SALU_CYCLE_1)
	s_or_b32 s74, s74, s75
	s_mov_b32 s76, -1
	s_or_b32 s72, s72, exec_lo
	s_and_saveexec_b32 s75, s74
	s_cbranch_execz .LBB4_162
.LBB4_166:                              ;   in Loop: Header=BB4_163 Depth=3
	s_sleep 1
	s_trap 2
	ds_load_b64 v[102:103], v0
	s_wait_dscnt 0x0
	s_and_not1_b32 s72, s72, exec_lo
	v_cmp_ge_u64_e32 vcc_lo, v[102:103], v[12:13]
	s_or_not1_b32 s76, vcc_lo, exec_lo
	s_branch .LBB4_162
.LBB4_167:                              ;   in Loop: Header=BB4_57 Depth=2
	s_or_b32 exec_lo, exec_lo, s62
	s_and_saveexec_b32 s62, s63
	s_delay_alu instid0(SALU_CYCLE_1)
	s_xor_b32 s62, exec_lo, s62
	s_cbranch_execz .LBB4_169
; %bb.168:                              ;   in Loop: Header=BB4_57 Depth=2
	ds_store_b32 v0, v57
	s_trap 2
.LBB4_169:                              ;   in Loop: Header=BB4_57 Depth=2
	s_or_b32 exec_lo, exec_lo, s61
	;;#ASMSTART
	s_wakeup
	;;#ASMEND
.LBB4_170:                              ;   in Loop: Header=BB4_57 Depth=2
	s_or_b32 exec_lo, exec_lo, s60
.LBB4_171:                              ;   in Loop: Header=BB4_57 Depth=2
	s_and_not1_saveexec_b32 s41, s41
	s_cbranch_execz .LBB4_173
; %bb.172:                              ;   in Loop: Header=BB4_57 Depth=2
	global_wb scope:SCOPE_DEV
	s_wait_storecnt 0x0
	s_wait_loadcnt_dscnt 0x0
	global_inv scope:SCOPE_DEV
	s_barrier_signal -1
	s_barrier_wait -1
.LBB4_173:                              ;   in Loop: Header=BB4_57 Depth=2
	s_or_b32 exec_lo, exec_lo, s41
	s_delay_alu instid0(SALU_CYCLE_1) | instskip(SKIP_1) | instid1(SALU_CYCLE_1)
	s_or_b32 exec_lo, exec_lo, s40
                                        ; implicit-def: $vgpr2
	s_and_saveexec_b32 s40, s10
	s_xor_b32 s40, exec_lo, s40
	s_cbranch_execnz .LBB4_131
.LBB4_174:                              ;   in Loop: Header=BB4_57 Depth=2
	s_and_not1_saveexec_b32 s13, s40
	s_cbranch_execz .LBB4_193
.LBB4_175:                              ;   in Loop: Header=BB4_57 Depth=2
	s_and_saveexec_b32 s40, s3
	s_delay_alu instid0(SALU_CYCLE_1)
	s_xor_b32 s40, exec_lo, s40
	s_cbranch_execz .LBB4_190
; %bb.176:                              ;   in Loop: Header=BB4_57 Depth=2
	s_and_saveexec_b32 s41, s6
	s_cbranch_execz .LBB4_189
; %bb.177:                              ;   in Loop: Header=BB4_57 Depth=2
	s_mov_b32 s61, exec_lo
	s_mov_b32 s60, exec_lo
	v_mbcnt_lo_u32_b32 v2, s61, 0
	;;#ASMSTART
	s_waitcnt lgkmcnt(0) vmcnt(0)
	;;#ASMEND
	s_delay_alu instid0(VALU_DEP_1)
	v_cmpx_eq_u32_e32 0, v2
	s_cbranch_execz .LBB4_179
; %bb.178:                              ;   in Loop: Header=BB4_57 Depth=2
	s_bcnt1_i32_b32 s61, s61
	s_delay_alu instid0(SALU_CYCLE_1)
	v_mov_b32_e32 v2, s61
	s_wait_storecnt 0x0
	s_wait_loadcnt_dscnt 0x0
	ds_add_u64 v0, v[2:3]
	s_trap 2
.LBB4_179:                              ;   in Loop: Header=BB4_57 Depth=2
	s_or_b32 exec_lo, exec_lo, s60
	s_trap 2
	ds_load_b64 v[102:103], v0
	s_wait_dscnt 0x0
	v_add_nc_u64_e32 v[12:13], v[12:13], v[32:33]
	s_mov_b32 s60, exec_lo
	s_delay_alu instid0(VALU_DEP_1)
	v_cmpx_lt_u64_e64 v[102:103], v[12:13]
	s_cbranch_execz .LBB4_188
; %bb.180:                              ;   in Loop: Header=BB4_57 Depth=2
	s_mov_b32 s61, 0
	s_mov_b32 s72, 0
                                        ; implicit-def: $sgpr62
                                        ; implicit-def: $sgpr63
	s_branch .LBB4_182
.LBB4_181:                              ;   in Loop: Header=BB4_182 Depth=3
	s_or_b32 exec_lo, exec_lo, s74
	s_delay_alu instid0(SALU_CYCLE_1) | instskip(NEXT) | instid1(SALU_CYCLE_1)
	s_and_b32 s73, exec_lo, s75
	s_or_b32 s61, s73, s61
	s_and_not1_b32 s62, s62, exec_lo
	s_and_b32 s73, s63, exec_lo
	s_delay_alu instid0(SALU_CYCLE_1)
	s_or_b32 s62, s62, s73
	s_and_not1_b32 exec_lo, exec_lo, s61
	s_cbranch_execz .LBB4_186
.LBB4_182:                              ;   Parent Loop BB4_47 Depth=1
                                        ;     Parent Loop BB4_57 Depth=2
                                        ; =>    This Inner Loop Header: Depth=3
	s_add_co_i32 s72, s72, 1
	s_delay_alu instid0(SALU_CYCLE_1) | instskip(SKIP_1) | instid1(SALU_CYCLE_1)
	s_cmp_lg_u32 s72, 0x2710
	s_cselect_b32 s73, -1, 0
	s_and_b32 vcc_lo, exec_lo, s73
	s_cbranch_vccz .LBB4_184
; %bb.183:                              ;   in Loop: Header=BB4_182 Depth=3
	s_mov_b32 s75, -1
	s_or_b32 s63, s63, exec_lo
	s_and_saveexec_b32 s74, s73
	s_cbranch_execz .LBB4_181
	s_branch .LBB4_185
.LBB4_184:                              ;   in Loop: Header=BB4_182 Depth=3
	s_trap 2
	ds_load_b64 v[102:103], v0
	s_and_not1_b32 s73, s73, exec_lo
	s_mov_b32 s72, 0
	s_wait_storecnt 0x0
	s_wait_loadcnt_dscnt 0x0
	flat_load_b32 v2, v[102:103] scope:SCOPE_SYS
	s_wait_loadcnt_dscnt 0x0
	global_inv scope:SCOPE_SYS
	v_cmp_eq_u32_e32 vcc_lo, 0, v2
	s_and_b32 s74, vcc_lo, exec_lo
	s_delay_alu instid0(SALU_CYCLE_1)
	s_or_b32 s73, s73, s74
	s_mov_b32 s75, -1
	s_or_b32 s63, s63, exec_lo
	s_and_saveexec_b32 s74, s73
	s_cbranch_execz .LBB4_181
.LBB4_185:                              ;   in Loop: Header=BB4_182 Depth=3
	s_sleep 1
	s_trap 2
	ds_load_b64 v[102:103], v0
	s_wait_dscnt 0x0
	s_and_not1_b32 s63, s63, exec_lo
	v_cmp_ge_u64_e32 vcc_lo, v[102:103], v[12:13]
	s_or_not1_b32 s75, vcc_lo, exec_lo
	s_branch .LBB4_181
.LBB4_186:                              ;   in Loop: Header=BB4_57 Depth=2
	s_or_b32 exec_lo, exec_lo, s61
	s_and_saveexec_b32 s61, s62
	s_delay_alu instid0(SALU_CYCLE_1)
	s_xor_b32 s61, exec_lo, s61
	s_cbranch_execz .LBB4_188
; %bb.187:                              ;   in Loop: Header=BB4_57 Depth=2
	ds_store_b32 v0, v57
	s_trap 2
.LBB4_188:                              ;   in Loop: Header=BB4_57 Depth=2
	s_or_b32 exec_lo, exec_lo, s60
	;;#ASMSTART
	s_wakeup
	;;#ASMEND
.LBB4_189:                              ;   in Loop: Header=BB4_57 Depth=2
	s_or_b32 exec_lo, exec_lo, s41
.LBB4_190:                              ;   in Loop: Header=BB4_57 Depth=2
	s_and_not1_saveexec_b32 s40, s40
	s_cbranch_execz .LBB4_192
; %bb.191:                              ;   in Loop: Header=BB4_57 Depth=2
	;;#ASMSTART
	s_waitcnt lgkmcnt(0) vmcnt(0)
	;;#ASMEND
	s_barrier_signal -1
	s_barrier_wait -1
.LBB4_192:                              ;   in Loop: Header=BB4_57 Depth=2
	s_or_b32 exec_lo, exec_lo, s40
	v_and_b32_e32 v2, 16, v30
.LBB4_193:                              ;   in Loop: Header=BB4_57 Depth=2
	s_or_b32 exec_lo, exec_lo, s13
	s_delay_alu instid0(SALU_CYCLE_1) | instskip(NEXT) | instid1(VALU_DEP_1)
	s_mov_b32 s13, exec_lo
	v_cmpx_ne_u32_e32 0, v2
	s_cbranch_execz .LBB4_56
; %bb.194:                              ;   in Loop: Header=BB4_57 Depth=2
	s_and_saveexec_b32 s40, s5
	s_cbranch_execz .LBB4_55
; %bb.195:                              ;   in Loop: Header=BB4_57 Depth=2
	global_wb scope:SCOPE_SYS
	s_wait_storecnt 0x0
	s_wait_loadcnt_dscnt 0x0
	flat_store_b32 v[26:27], v57 scope:SCOPE_SYS
	s_branch .LBB4_55
.LBB4_196:                              ;   in Loop: Header=BB4_47 Depth=1
	s_or_b32 exec_lo, exec_lo, s15
.LBB4_197:                              ;   in Loop: Header=BB4_47 Depth=1
	s_delay_alu instid0(SALU_CYCLE_1) | instskip(NEXT) | instid1(SALU_CYCLE_1)
	s_or_b32 exec_lo, exec_lo, s14
	s_mov_b32 s14, exec_lo
	v_cmpx_gt_i32_e32 2, v2
	s_cbranch_execz .LBB4_271
; %bb.198:                              ;   in Loop: Header=BB4_47 Depth=1
	v_cmp_eq_u32_e64 s18, 0, v2
	s_mov_b32 s15, 0
	s_branch .LBB4_201
.LBB4_199:                              ;   in Loop: Header=BB4_201 Depth=2
	s_wait_xcnt 0x0
	s_or_b32 exec_lo, exec_lo, s18
	v_add_nc_u64_e32 v[86:87], 2, v[86:87]
	global_wb scope:SCOPE_SYS
	s_wait_storecnt 0x0
	s_wait_loadcnt_dscnt 0x0
	flat_store_b64 v[20:21], v[86:87] scope:SCOPE_SYS
.LBB4_200:                              ;   in Loop: Header=BB4_201 Depth=2
	s_wait_xcnt 0x0
	s_or_b32 exec_lo, exec_lo, s13
	v_add_nc_u32_e32 v10, v8, v10
	s_mov_b32 s18, 0
	s_and_not1_b32 exec_lo, exec_lo, s15
	s_cbranch_execz .LBB4_270
.LBB4_201:                              ;   Parent Loop BB4_47 Depth=1
                                        ; =>  This Loop Header: Depth=2
                                        ;       Child Loop BB4_207 Depth 3
                                        ;       Child Loop BB4_231 Depth 3
	;; [unrolled: 1-line block ×3, first 2 shown]
	s_delay_alu instid0(VALU_DEP_1) | instskip(SKIP_2) | instid1(VALU_DEP_2)
	v_sub_nc_u32_e32 v2, v40, v10
	v_and_b32_e32 v9, 8, v30
	s_mov_b32 s27, exec_lo
	v_min_i32_e32 v8, v8, v2
	s_delay_alu instid0(VALU_DEP_2)
	v_cmpx_ne_u32_e32 0, v9
	s_cbranch_execz .LBB4_223
; %bb.202:                              ;   in Loop: Header=BB4_201 Depth=2
	s_wait_loadcnt_dscnt 0x1
	v_add_nc_u64_e32 v[102:103], 8, v[28:29]
	v_add_nc_u64_e32 v[100:101], 2, v[86:87]
	s_mov_b32 s40, exec_lo
	s_delay_alu instid0(VALU_DEP_1)
	v_cmpx_lt_u64_e64 v[102:103], v[100:101]
	s_cbranch_execz .LBB4_214
; %bb.203:                              ;   in Loop: Header=BB4_201 Depth=2
	v_and_b32_e32 v2, 64, v30
	s_mov_b32 s41, 0
	s_mov_b32 s63, 0
                                        ; implicit-def: $sgpr60
                                        ; implicit-def: $sgpr61
                                        ; implicit-def: $sgpr62
	s_delay_alu instid0(VALU_DEP_1)
	v_cmp_eq_u32_e32 vcc_lo, 0, v2
	s_branch .LBB4_207
.LBB4_204:                              ;   in Loop: Header=BB4_207 Depth=3
	s_wait_loadcnt_dscnt 0x0
	v_add_nc_u64_e32 v[102:103], 8, v[28:29]
	s_or_b32 s74, s74, exec_lo
	s_delay_alu instid0(VALU_DEP_1)
	v_cmp_ge_u64_e64 s13, v[102:103], v[100:101]
	s_or_not1_b32 s73, s13, exec_lo
.LBB4_205:                              ;   in Loop: Header=BB4_207 Depth=3
	s_or_b32 exec_lo, exec_lo, s76
	s_delay_alu instid0(SALU_CYCLE_1)
	s_and_not1_b32 s13, s62, exec_lo
	s_and_b32 s62, s74, exec_lo
	s_and_not1_b32 s61, s61, exec_lo
	s_and_b32 s73, s73, exec_lo
	s_or_b32 s62, s13, s62
	s_or_b32 s61, s61, s73
.LBB4_206:                              ;   in Loop: Header=BB4_207 Depth=3
	s_or_b32 exec_lo, exec_lo, s72
	s_delay_alu instid0(SALU_CYCLE_1) | instskip(NEXT) | instid1(SALU_CYCLE_1)
	s_and_b32 s13, exec_lo, s61
	s_or_b32 s41, s13, s41
	s_and_not1_b32 s13, s60, exec_lo
	s_and_b32 s60, s62, exec_lo
	s_delay_alu instid0(SALU_CYCLE_1)
	s_or_b32 s60, s13, s60
	s_and_not1_b32 exec_lo, exec_lo, s41
	s_cbranch_execz .LBB4_211
.LBB4_207:                              ;   Parent Loop BB4_47 Depth=1
                                        ;     Parent Loop BB4_201 Depth=2
                                        ; =>    This Inner Loop Header: Depth=3
	s_sleep 1
	s_wait_loadcnt_dscnt 0x0
	flat_load_b64 v[28:29], v[20:21] scope:SCOPE_SYS
	s_or_b32 s62, s62, exec_lo
	s_or_b32 s61, s61, exec_lo
                                        ; implicit-def: $vgpr2
	s_wait_xcnt 0x0
	s_and_saveexec_b32 s72, vcc_lo
	s_cbranch_execz .LBB4_206
; %bb.208:                              ;   in Loop: Header=BB4_207 Depth=3
	s_cmp_lt_i32 s63, 0x270f
	s_mov_b32 s73, -1
	s_cselect_b32 s75, -1, 0
	s_cmp_gt_i32 s63, 0x270e
	s_cbranch_scc0 .LBB4_210
; %bb.209:                              ;   in Loop: Header=BB4_207 Depth=3
	s_trap 2
	ds_load_b64 v[102:103], v0
	s_and_not1_b32 s63, s75, exec_lo
	s_mov_b32 s74, 0
	s_wait_storecnt 0x0
	s_wait_loadcnt_dscnt 0x0
	flat_load_b32 v2, v[102:103] scope:SCOPE_SYS
	s_wait_loadcnt_dscnt 0x0
	global_inv scope:SCOPE_SYS
	v_cmp_eq_u32_e64 s13, 0, v2
	s_and_b32 s13, s13, exec_lo
	s_delay_alu instid0(SALU_CYCLE_1)
	s_or_b32 s75, s63, s13
	s_mov_b32 s63, 0
	s_and_saveexec_b32 s76, s75
	s_cbranch_execz .LBB4_205
	s_branch .LBB4_204
.LBB4_210:                              ;   in Loop: Header=BB4_207 Depth=3
	s_add_co_i32 s63, s63, 1
	s_mov_b32 s74, -1
                                        ; implicit-def: $vgpr2
	s_and_saveexec_b32 s76, s75
	s_cbranch_execz .LBB4_205
	s_branch .LBB4_204
.LBB4_211:                              ;   in Loop: Header=BB4_201 Depth=2
	s_or_b32 exec_lo, exec_lo, s41
	s_xor_b32 s13, s60, -1
	s_delay_alu instid0(SALU_CYCLE_1) | instskip(NEXT) | instid1(SALU_CYCLE_1)
	s_and_saveexec_b32 s41, s13
	s_xor_b32 s13, exec_lo, s41
	s_cbranch_execz .LBB4_213
; %bb.212:                              ;   in Loop: Header=BB4_201 Depth=2
	v_or_b32_e32 v30, 64, v30
	s_wait_storecnt 0x0
	s_wait_loadcnt_dscnt 0x0
	ds_store_b32 v0, v2
	s_trap 2
.LBB4_213:                              ;   in Loop: Header=BB4_201 Depth=2
	s_or_b32 exec_lo, exec_lo, s13
.LBB4_214:                              ;   in Loop: Header=BB4_201 Depth=2
	s_delay_alu instid0(SALU_CYCLE_1) | instskip(SKIP_4) | instid1(VALU_DEP_1)
	s_or_b32 exec_lo, exec_lo, s40
	v_and_b32_e32 v2, 0x100, v30
	s_mov_b32 s40, 0
	s_mov_b32 s13, exec_lo
	;;#ASMSTART
	s_wakeup
	;;#ASMEND
                                        ; implicit-def: $vgpr102_vgpr103
	v_cmpx_ne_u32_e32 0, v2
	s_xor_b32 s13, exec_lo, s13
	s_cbranch_execz .LBB4_235
; %bb.215:                              ;   in Loop: Header=BB4_201 Depth=2
	v_dual_ashrrev_i32 v9, 31, v8 :: v_dual_bitop2_b32 v2, 7, v86 bitop3:0x40
	s_mov_b32 s40, -1
	s_mov_b32 s41, exec_lo
	s_delay_alu instid0(VALU_DEP_1) | instskip(NEXT) | instid1(VALU_DEP_2)
	v_mad_nc_u64_u32 v[86:87], v2, 24, v[6:7]
	v_lshlrev_b64_e32 v[102:103], 2, v[8:9]
	s_clause 0x1
	flat_load_b32 v11, v[86:87]
	flat_store_b64 v[86:87], v[102:103] offset:8
                                        ; implicit-def: $vgpr102_vgpr103
	s_wait_loadcnt_dscnt 0x1
	v_cmpx_eq_u32_e32 1, v11
	s_cbranch_execz .LBB4_217
; %bb.216:                              ;   in Loop: Header=BB4_201 Depth=2
	flat_load_b32 v86, v[86:87] offset:4 scope:SCOPE_SYS
	s_xor_b32 s40, exec_lo, -1
	s_wait_loadcnt_dscnt 0x0
	v_ashrrev_i32_e32 v87, 31, v86
	s_delay_alu instid0(VALU_DEP_1)
	v_lshrrev_b64 v[102:103], 2, v[86:87]
.LBB4_217:                              ;   in Loop: Header=BB4_201 Depth=2
	s_or_b32 exec_lo, exec_lo, s41
	s_delay_alu instid0(SALU_CYCLE_1)
	s_and_b32 s40, s40, exec_lo
                                        ; implicit-def: $vgpr86_vgpr87
	s_and_not1_saveexec_b32 s13, s13
	s_cbranch_execnz .LBB4_236
.LBB4_218:                              ;   in Loop: Header=BB4_201 Depth=2
	s_or_b32 exec_lo, exec_lo, s13
	s_and_saveexec_b32 s13, s40
.LBB4_219:                              ;   in Loop: Header=BB4_201 Depth=2
	v_mul_u64_e32 v[102:103], v[2:3], v[22:23]
.LBB4_220:                              ;   in Loop: Header=BB4_201 Depth=2
	s_or_b32 exec_lo, exec_lo, s13
	v_and_b32_e32 v2, 0x2000, v30
	s_delay_alu instid0(VALU_DEP_2)
	v_lshl_add_u64 v[86:87], v[102:103], 2, v[24:25]
	s_mov_b32 s13, exec_lo
	ds_store_b64 v0, v[86:87] offset:784
	v_cmpx_ne_u32_e32 0, v2
	s_cbranch_execz .LBB4_222
; %bb.221:                              ;   in Loop: Header=BB4_201 Depth=2
	ds_load_b64 v[86:87], v0 offset:872
	s_wait_dscnt 0x0
	v_add_nc_u64_e32 v[86:87], 1, v[86:87]
	ds_store_b64 v0, v[86:87] offset:872
.LBB4_222:                              ;   in Loop: Header=BB4_201 Depth=2
	s_or_b32 exec_lo, exec_lo, s13
	v_mov_b64_e32 v[86:87], v[100:101]
.LBB4_223:                              ;   in Loop: Header=BB4_201 Depth=2
	s_or_b32 exec_lo, exec_lo, s27
	s_xor_b32 s13, s18, -1
	s_delay_alu instid0(SALU_CYCLE_1) | instskip(NEXT) | instid1(SALU_CYCLE_1)
	s_and_b32 s13, exec_lo, s13
	s_or_b32 s15, s13, s15
	s_and_saveexec_b32 s13, s2
	s_cbranch_execz .LBB4_244
; %bb.224:                              ;   in Loop: Header=BB4_201 Depth=2
	s_and_saveexec_b32 s18, s3
	s_delay_alu instid0(SALU_CYCLE_1)
	s_xor_b32 s18, exec_lo, s18
	s_cbranch_execz .LBB4_241
; %bb.225:                              ;   in Loop: Header=BB4_201 Depth=2
	s_and_saveexec_b32 s27, s6
	s_cbranch_execz .LBB4_240
; %bb.226:                              ;   in Loop: Header=BB4_201 Depth=2
	s_mov_b32 s41, exec_lo
	s_mov_b32 s40, exec_lo
	v_mbcnt_lo_u32_b32 v2, s41, 0
	global_wb scope:SCOPE_DEV
	s_wait_storecnt 0x0
	s_wait_loadcnt_dscnt 0x0
	global_inv scope:SCOPE_DEV
	v_cmpx_eq_u32_e32 0, v2
	s_cbranch_execz .LBB4_228
; %bb.227:                              ;   in Loop: Header=BB4_201 Depth=2
	s_bcnt1_i32_b32 s41, s41
	s_delay_alu instid0(SALU_CYCLE_1)
	v_mov_b32_e32 v2, s41
	s_wait_loadcnt 0x0
	ds_add_u64 v0, v[2:3]
	s_trap 2
.LBB4_228:                              ;   in Loop: Header=BB4_201 Depth=2
	s_or_b32 exec_lo, exec_lo, s40
	s_trap 2
	ds_load_b64 v[100:101], v0
	s_wait_dscnt 0x0
	v_add_nc_u64_e32 v[12:13], v[12:13], v[32:33]
	s_mov_b32 s40, exec_lo
	s_delay_alu instid0(VALU_DEP_1)
	v_cmpx_lt_u64_e64 v[100:101], v[12:13]
	s_cbranch_execz .LBB4_239
; %bb.229:                              ;   in Loop: Header=BB4_201 Depth=2
	s_mov_b32 s41, 0
	s_mov_b32 s62, 0
                                        ; implicit-def: $sgpr60
                                        ; implicit-def: $sgpr61
	s_branch .LBB4_231
.LBB4_230:                              ;   in Loop: Header=BB4_231 Depth=3
	s_or_b32 exec_lo, exec_lo, s72
	s_delay_alu instid0(SALU_CYCLE_1) | instskip(NEXT) | instid1(SALU_CYCLE_1)
	s_and_b32 s63, exec_lo, s73
	s_or_b32 s41, s63, s41
	s_and_not1_b32 s60, s60, exec_lo
	s_and_b32 s63, s61, exec_lo
	s_delay_alu instid0(SALU_CYCLE_1)
	s_or_b32 s60, s60, s63
	s_and_not1_b32 exec_lo, exec_lo, s41
	s_cbranch_execz .LBB4_237
.LBB4_231:                              ;   Parent Loop BB4_47 Depth=1
                                        ;     Parent Loop BB4_201 Depth=2
                                        ; =>    This Inner Loop Header: Depth=3
	s_add_co_i32 s62, s62, 1
	s_delay_alu instid0(SALU_CYCLE_1) | instskip(SKIP_1) | instid1(SALU_CYCLE_1)
	s_cmp_lg_u32 s62, 0x2710
	s_cselect_b32 s63, -1, 0
	s_and_b32 vcc_lo, exec_lo, s63
	s_cbranch_vccz .LBB4_233
; %bb.232:                              ;   in Loop: Header=BB4_231 Depth=3
	s_mov_b32 s73, -1
	s_or_b32 s61, s61, exec_lo
	s_and_saveexec_b32 s72, s63
	s_cbranch_execz .LBB4_230
	s_branch .LBB4_234
.LBB4_233:                              ;   in Loop: Header=BB4_231 Depth=3
	s_trap 2
	ds_load_b64 v[100:101], v0
	s_and_not1_b32 s63, s63, exec_lo
	s_mov_b32 s62, 0
	s_wait_loadcnt_dscnt 0x0
	flat_load_b32 v2, v[100:101] scope:SCOPE_SYS
	s_wait_loadcnt_dscnt 0x0
	global_inv scope:SCOPE_SYS
	v_cmp_eq_u32_e32 vcc_lo, 0, v2
	s_and_b32 s72, vcc_lo, exec_lo
	s_delay_alu instid0(SALU_CYCLE_1)
	s_or_b32 s63, s63, s72
	s_mov_b32 s73, -1
	s_or_b32 s61, s61, exec_lo
	s_and_saveexec_b32 s72, s63
	s_cbranch_execz .LBB4_230
.LBB4_234:                              ;   in Loop: Header=BB4_231 Depth=3
	s_sleep 1
	s_trap 2
	ds_load_b64 v[100:101], v0
	s_wait_dscnt 0x0
	s_and_not1_b32 s61, s61, exec_lo
	v_cmp_ge_u64_e32 vcc_lo, v[100:101], v[12:13]
	s_or_not1_b32 s73, vcc_lo, exec_lo
	s_branch .LBB4_230
.LBB4_235:                              ;   in Loop: Header=BB4_201 Depth=2
	s_and_not1_saveexec_b32 s13, s13
	s_cbranch_execz .LBB4_218
.LBB4_236:                              ;   in Loop: Header=BB4_201 Depth=2
	v_and_b32_e32 v2, 7, v86
	s_or_b32 s40, s40, exec_lo
	s_or_b32 exec_lo, exec_lo, s13
	s_and_saveexec_b32 s13, s40
	s_cbranch_execnz .LBB4_219
	s_branch .LBB4_220
.LBB4_237:                              ;   in Loop: Header=BB4_201 Depth=2
	s_or_b32 exec_lo, exec_lo, s41
	s_and_saveexec_b32 s41, s60
	s_delay_alu instid0(SALU_CYCLE_1)
	s_xor_b32 s41, exec_lo, s41
	s_cbranch_execz .LBB4_239
; %bb.238:                              ;   in Loop: Header=BB4_201 Depth=2
	ds_store_b32 v0, v57
	s_trap 2
.LBB4_239:                              ;   in Loop: Header=BB4_201 Depth=2
	s_or_b32 exec_lo, exec_lo, s40
	;;#ASMSTART
	s_wakeup
	;;#ASMEND
.LBB4_240:                              ;   in Loop: Header=BB4_201 Depth=2
	s_or_b32 exec_lo, exec_lo, s27
.LBB4_241:                              ;   in Loop: Header=BB4_201 Depth=2
	s_and_not1_saveexec_b32 s18, s18
	s_cbranch_execz .LBB4_243
; %bb.242:                              ;   in Loop: Header=BB4_201 Depth=2
	global_wb scope:SCOPE_DEV
	s_wait_storecnt 0x0
	s_wait_loadcnt_dscnt 0x0
	global_inv scope:SCOPE_DEV
	s_barrier_signal -1
	s_barrier_wait -1
.LBB4_243:                              ;   in Loop: Header=BB4_201 Depth=2
	s_or_b32 exec_lo, exec_lo, s18
.LBB4_244:                              ;   in Loop: Header=BB4_201 Depth=2
	s_delay_alu instid0(SALU_CYCLE_1) | instskip(SKIP_1) | instid1(SALU_CYCLE_1)
	s_or_b32 exec_lo, exec_lo, s13
                                        ; implicit-def: $vgpr2
	s_and_saveexec_b32 s13, s10
	s_xor_b32 s18, exec_lo, s13
	s_cbranch_execz .LBB4_248
; %bb.245:                              ;   in Loop: Header=BB4_201 Depth=2
	s_trap 2
	ds_load_b32 v2, v0
	v_cmp_lt_i32_e32 vcc_lo, 0, v8
	s_wait_dscnt 0x0
	v_readfirstlane_b32 s13, v2
	v_and_b32_e32 v2, 16, v30
	s_cmp_eq_u32 s13, 0
	s_delay_alu instid0(VALU_DEP_1) | instskip(SKIP_3) | instid1(SALU_CYCLE_1)
	v_cmp_ne_u32_e64 s13, 0, v2
	s_cselect_b32 s27, -1, 0
	v_and_b32_e32 v2, 16, v30
	s_and_b32 s27, vcc_lo, s27
	s_and_b32 s27, s13, s27
	s_delay_alu instid0(SALU_CYCLE_1)
	s_and_saveexec_b32 s13, s27
	s_cbranch_execz .LBB4_247
; %bb.246:                              ;   in Loop: Header=BB4_201 Depth=2
	v_mov_b32_e32 v2, 1
	global_wb scope:SCOPE_SYS
	s_wait_loadcnt 0x0
	s_wait_storecnt 0x0
	global_inv scope:SCOPE_SYS
.LBB4_247:                              ;   in Loop: Header=BB4_201 Depth=2
	s_or_b32 exec_lo, exec_lo, s13
	s_and_not1_saveexec_b32 s13, s18
	s_cbranch_execz .LBB4_267
	s_branch .LBB4_249
.LBB4_248:                              ;   in Loop: Header=BB4_201 Depth=2
	s_and_not1_saveexec_b32 s13, s18
	s_cbranch_execz .LBB4_267
.LBB4_249:                              ;   in Loop: Header=BB4_201 Depth=2
	s_and_saveexec_b32 s18, s3
	s_delay_alu instid0(SALU_CYCLE_1)
	s_xor_b32 s18, exec_lo, s18
	s_cbranch_execz .LBB4_264
; %bb.250:                              ;   in Loop: Header=BB4_201 Depth=2
	s_and_saveexec_b32 s27, s6
	s_cbranch_execz .LBB4_263
; %bb.251:                              ;   in Loop: Header=BB4_201 Depth=2
	s_mov_b32 s41, exec_lo
	s_mov_b32 s40, exec_lo
	v_mbcnt_lo_u32_b32 v2, s41, 0
	;;#ASMSTART
	s_waitcnt lgkmcnt(0) vmcnt(0)
	;;#ASMEND
	s_delay_alu instid0(VALU_DEP_1)
	v_cmpx_eq_u32_e32 0, v2
	s_cbranch_execz .LBB4_253
; %bb.252:                              ;   in Loop: Header=BB4_201 Depth=2
	s_bcnt1_i32_b32 s41, s41
	s_delay_alu instid0(SALU_CYCLE_1)
	v_mov_b32_e32 v2, s41
	s_wait_storecnt 0x0
	s_wait_loadcnt_dscnt 0x0
	ds_add_u64 v0, v[2:3]
	s_trap 2
.LBB4_253:                              ;   in Loop: Header=BB4_201 Depth=2
	s_or_b32 exec_lo, exec_lo, s40
	s_trap 2
	ds_load_b64 v[100:101], v0
	s_wait_dscnt 0x0
	v_add_nc_u64_e32 v[12:13], v[12:13], v[32:33]
	s_mov_b32 s40, exec_lo
	s_delay_alu instid0(VALU_DEP_1)
	v_cmpx_lt_u64_e64 v[100:101], v[12:13]
	s_cbranch_execz .LBB4_262
; %bb.254:                              ;   in Loop: Header=BB4_201 Depth=2
	s_mov_b32 s41, 0
	s_mov_b32 s62, 0
                                        ; implicit-def: $sgpr60
                                        ; implicit-def: $sgpr61
	s_branch .LBB4_256
.LBB4_255:                              ;   in Loop: Header=BB4_256 Depth=3
	s_or_b32 exec_lo, exec_lo, s72
	s_delay_alu instid0(SALU_CYCLE_1) | instskip(NEXT) | instid1(SALU_CYCLE_1)
	s_and_b32 s63, exec_lo, s73
	s_or_b32 s41, s63, s41
	s_and_not1_b32 s60, s60, exec_lo
	s_and_b32 s63, s61, exec_lo
	s_delay_alu instid0(SALU_CYCLE_1)
	s_or_b32 s60, s60, s63
	s_and_not1_b32 exec_lo, exec_lo, s41
	s_cbranch_execz .LBB4_260
.LBB4_256:                              ;   Parent Loop BB4_47 Depth=1
                                        ;     Parent Loop BB4_201 Depth=2
                                        ; =>    This Inner Loop Header: Depth=3
	s_add_co_i32 s62, s62, 1
	s_delay_alu instid0(SALU_CYCLE_1) | instskip(SKIP_1) | instid1(SALU_CYCLE_1)
	s_cmp_lg_u32 s62, 0x2710
	s_cselect_b32 s63, -1, 0
	s_and_b32 vcc_lo, exec_lo, s63
	s_cbranch_vccz .LBB4_258
; %bb.257:                              ;   in Loop: Header=BB4_256 Depth=3
	s_mov_b32 s73, -1
	s_or_b32 s61, s61, exec_lo
	s_and_saveexec_b32 s72, s63
	s_cbranch_execz .LBB4_255
	s_branch .LBB4_259
.LBB4_258:                              ;   in Loop: Header=BB4_256 Depth=3
	s_trap 2
	ds_load_b64 v[100:101], v0
	s_and_not1_b32 s63, s63, exec_lo
	s_mov_b32 s62, 0
	s_wait_storecnt 0x0
	s_wait_loadcnt_dscnt 0x0
	flat_load_b32 v2, v[100:101] scope:SCOPE_SYS
	s_wait_loadcnt_dscnt 0x0
	global_inv scope:SCOPE_SYS
	v_cmp_eq_u32_e32 vcc_lo, 0, v2
	s_and_b32 s72, vcc_lo, exec_lo
	s_delay_alu instid0(SALU_CYCLE_1)
	s_or_b32 s63, s63, s72
	s_mov_b32 s73, -1
	s_or_b32 s61, s61, exec_lo
	s_and_saveexec_b32 s72, s63
	s_cbranch_execz .LBB4_255
.LBB4_259:                              ;   in Loop: Header=BB4_256 Depth=3
	s_sleep 1
	s_trap 2
	ds_load_b64 v[100:101], v0
	s_wait_dscnt 0x0
	s_and_not1_b32 s61, s61, exec_lo
	v_cmp_ge_u64_e32 vcc_lo, v[100:101], v[12:13]
	s_or_not1_b32 s73, vcc_lo, exec_lo
	s_branch .LBB4_255
.LBB4_260:                              ;   in Loop: Header=BB4_201 Depth=2
	s_or_b32 exec_lo, exec_lo, s41
	s_and_saveexec_b32 s41, s60
	s_delay_alu instid0(SALU_CYCLE_1)
	s_xor_b32 s41, exec_lo, s41
	s_cbranch_execz .LBB4_262
; %bb.261:                              ;   in Loop: Header=BB4_201 Depth=2
	ds_store_b32 v0, v57
	s_trap 2
.LBB4_262:                              ;   in Loop: Header=BB4_201 Depth=2
	s_or_b32 exec_lo, exec_lo, s40
	;;#ASMSTART
	s_wakeup
	;;#ASMEND
.LBB4_263:                              ;   in Loop: Header=BB4_201 Depth=2
	s_or_b32 exec_lo, exec_lo, s27
.LBB4_264:                              ;   in Loop: Header=BB4_201 Depth=2
	s_and_not1_saveexec_b32 s18, s18
	s_cbranch_execz .LBB4_266
; %bb.265:                              ;   in Loop: Header=BB4_201 Depth=2
	;;#ASMSTART
	s_waitcnt lgkmcnt(0) vmcnt(0)
	;;#ASMEND
	s_barrier_signal -1
	s_barrier_wait -1
.LBB4_266:                              ;   in Loop: Header=BB4_201 Depth=2
	s_or_b32 exec_lo, exec_lo, s18
	v_and_b32_e32 v2, 16, v30
.LBB4_267:                              ;   in Loop: Header=BB4_201 Depth=2
	s_or_b32 exec_lo, exec_lo, s13
	s_delay_alu instid0(SALU_CYCLE_1) | instskip(NEXT) | instid1(VALU_DEP_1)
	s_mov_b32 s13, exec_lo
	v_cmpx_ne_u32_e32 0, v2
	s_cbranch_execz .LBB4_200
; %bb.268:                              ;   in Loop: Header=BB4_201 Depth=2
	s_and_saveexec_b32 s18, s5
	s_cbranch_execz .LBB4_199
; %bb.269:                              ;   in Loop: Header=BB4_201 Depth=2
	global_wb scope:SCOPE_SYS
	s_wait_storecnt 0x0
	s_wait_loadcnt_dscnt 0x0
	flat_store_b32 v[26:27], v57 scope:SCOPE_SYS
	s_branch .LBB4_199
.LBB4_270:                              ;   in Loop: Header=BB4_47 Depth=1
	s_or_b32 exec_lo, exec_lo, s15
.LBB4_271:                              ;   in Loop: Header=BB4_47 Depth=1
	s_delay_alu instid0(SALU_CYCLE_1) | instskip(NEXT) | instid1(SALU_CYCLE_1)
	s_or_b32 exec_lo, exec_lo, s14
	s_and_not1_b32 vcc_lo, exec_lo, s46
	s_cbranch_vccnz .LBB4_496
; %bb.272:                              ;   in Loop: Header=BB4_47 Depth=1
	s_mov_b32 s14, 2
	s_branch .LBB4_275
.LBB4_273:                              ;   in Loop: Header=BB4_275 Depth=2
	s_or_b32 exec_lo, exec_lo, s18
.LBB4_274:                              ;   in Loop: Header=BB4_275 Depth=2
	s_delay_alu instid0(SALU_CYCLE_1) | instskip(SKIP_1) | instid1(SALU_CYCLE_1)
	s_or_b32 exec_lo, exec_lo, s15
	s_add_co_i32 s14, s14, 1
	s_cmp_eq_u32 s14, s16
	s_cbranch_scc1 .LBB4_496
.LBB4_275:                              ;   Parent Loop BB4_47 Depth=1
                                        ; =>  This Loop Header: Depth=2
                                        ;       Child Loop BB4_278 Depth 3
                                        ;         Child Loop BB4_286 Depth 4
                                        ;         Child Loop BB4_314 Depth 4
	;; [unrolled: 1-line block ×9, first 2 shown]
                                        ;       Child Loop BB4_424 Depth 3
                                        ;         Child Loop BB4_430 Depth 4
                                        ;         Child Loop BB4_458 Depth 4
	;; [unrolled: 1-line block ×3, first 2 shown]
	s_sub_co_i32 s13, s44, s14
	s_mov_b32 s18, 0
	s_cmp_ge_i32 s13, s16
	v_mov_b32_e32 v10, 0
	s_cselect_b32 s15, s16, 0
	s_delay_alu instid0(SALU_CYCLE_1) | instskip(NEXT) | instid1(SALU_CYCLE_1)
	s_sub_co_i32 s40, s13, s15
	s_ashr_i32 s41, s40, 31
	s_delay_alu instid0(SALU_CYCLE_1) | instskip(NEXT) | instid1(VALU_DEP_1)
	v_mul_u64_e32 v[100:101], s[40:41], v[84:85]
	v_sub_nc_u64_e32 v[8:9], v[96:97], v[100:101]
	s_delay_alu instid0(VALU_DEP_1) | instskip(NEXT) | instid1(VALU_DEP_1)
	v_min_i64 v[8:9], v[84:85], v[8:9]
	v_max_i32_e32 v40, 0, v8
	v_cmp_lt_i32_e32 vcc_lo, 0, v8
	s_delay_alu instid0(VALU_DEP_2) | instskip(SKIP_1) | instid1(VALU_DEP_1)
	v_add_nc_u32_e32 v2, 31, v40
	s_and_b32 s13, s57, vcc_lo
	v_lshrrev_b32_e32 v2, 1, v2
	s_delay_alu instid0(VALU_DEP_1) | instskip(NEXT) | instid1(VALU_DEP_1)
	v_and_b32_e32 v9, 0x3ffffff0, v2
	v_dual_mov_b32 v2, 0 :: v_dual_max_i32 v8, s45, v9
	s_and_saveexec_b32 s15, s13
	s_cbranch_execz .LBB4_421
; %bb.276:                              ;   in Loop: Header=BB4_275 Depth=2
	v_mov_b32_e32 v10, 0
	s_mov_b32 s40, 1
	s_mov_b32 s27, -1
	s_branch .LBB4_278
.LBB4_277:                              ;   in Loop: Header=BB4_278 Depth=3
	s_wait_xcnt 0x0
	s_or_b32 exec_lo, exec_lo, s13
	v_dual_add_nc_u32 v10, v8, v10 :: v_dual_mov_b32 v2, s40
	s_xor_b32 s13, s27, -1
	s_mov_b32 s27, 0
	s_mov_b32 s40, 2
	s_delay_alu instid0(VALU_DEP_1) | instskip(SKIP_1) | instid1(SALU_CYCLE_1)
	v_cmp_ge_i32_e32 vcc_lo, v10, v40
	s_or_b32 s13, s13, vcc_lo
	s_and_b32 s13, exec_lo, s13
	s_delay_alu instid0(SALU_CYCLE_1) | instskip(NEXT) | instid1(SALU_CYCLE_1)
	s_or_b32 s18, s13, s18
	s_and_not1_b32 exec_lo, exec_lo, s18
	s_cbranch_execz .LBB4_420
.LBB4_278:                              ;   Parent Loop BB4_47 Depth=1
                                        ;     Parent Loop BB4_275 Depth=2
                                        ; =>    This Loop Header: Depth=3
                                        ;         Child Loop BB4_286 Depth 4
                                        ;         Child Loop BB4_314 Depth 4
	;; [unrolled: 1-line block ×9, first 2 shown]
	s_and_saveexec_b32 s13, s0
	s_cbranch_execz .LBB4_280
; %bb.279:                              ;   in Loop: Header=BB4_278 Depth=3
	s_trap 2
	ds_load_b64 v[102:103], v0
	v_ashrrev_i32_e32 v11, 31, v10
	s_wait_dscnt 0x0
	v_lshl_add_u64 v[102:103], v[98:99], 2, v[102:103]
	s_delay_alu instid0(VALU_DEP_1) | instskip(NEXT) | instid1(VALU_DEP_1)
	v_lshl_add_u64 v[102:103], v[100:101], 2, v[102:103]
	v_lshl_add_u64 v[102:103], v[10:11], 2, v[102:103]
	ds_store_b64 v0, v[102:103]
	ds_store_b64 v0, v[34:35]
.LBB4_280:                              ;   in Loop: Header=BB4_278 Depth=3
	s_or_b32 exec_lo, exec_lo, s13
	v_sub_nc_u32_e32 v2, v40, v10
	v_and_b32_e32 v9, 12, v30
	s_mov_b32 s41, exec_lo
	s_delay_alu instid0(VALU_DEP_2) | instskip(NEXT) | instid1(VALU_DEP_2)
	v_min_i32_e32 v8, v8, v2
	v_cmpx_ne_u32_e32 0, v9
	s_cbranch_execz .LBB4_306
; %bb.281:                              ;   in Loop: Header=BB4_278 Depth=3
	v_and_b32_e32 v2, 8, v30
	v_add_nc_u64_e32 v[102:103], 2, v[86:87]
	s_mov_b32 s60, exec_lo
	s_wait_loadcnt_dscnt 0x1
	s_delay_alu instid0(VALU_DEP_2) | instskip(NEXT) | instid1(VALU_DEP_1)
	v_add_nc_u64_e32 v[112:113], v[28:29], v[2:3]
	v_cmpx_lt_u64_e64 v[112:113], v[102:103]
	s_cbranch_execz .LBB4_293
; %bb.282:                              ;   in Loop: Header=BB4_278 Depth=3
	v_and_b32_e32 v9, 64, v30
	s_mov_b32 s61, 0
	s_mov_b32 s73, 0
                                        ; implicit-def: $sgpr62
                                        ; implicit-def: $sgpr63
                                        ; implicit-def: $sgpr72
	s_delay_alu instid0(VALU_DEP_1)
	v_cmp_eq_u32_e32 vcc_lo, 0, v9
	s_branch .LBB4_286
.LBB4_283:                              ;   in Loop: Header=BB4_286 Depth=4
	s_wait_loadcnt_dscnt 0x0
	v_add_nc_u64_e32 v[112:113], v[28:29], v[2:3]
	s_or_b32 s76, s76, exec_lo
	s_delay_alu instid0(VALU_DEP_1)
	v_cmp_ge_u64_e64 s13, v[112:113], v[102:103]
	s_or_not1_b32 s75, s13, exec_lo
.LBB4_284:                              ;   in Loop: Header=BB4_286 Depth=4
	s_or_b32 exec_lo, exec_lo, s78
	s_delay_alu instid0(SALU_CYCLE_1)
	s_and_not1_b32 s13, s72, exec_lo
	s_and_b32 s72, s76, exec_lo
	s_and_not1_b32 s63, s63, exec_lo
	s_and_b32 s75, s75, exec_lo
	s_or_b32 s72, s13, s72
	s_or_b32 s63, s63, s75
.LBB4_285:                              ;   in Loop: Header=BB4_286 Depth=4
	s_or_b32 exec_lo, exec_lo, s74
	s_delay_alu instid0(SALU_CYCLE_1) | instskip(NEXT) | instid1(SALU_CYCLE_1)
	s_and_b32 s13, exec_lo, s63
	s_or_b32 s61, s13, s61
	s_and_not1_b32 s13, s62, exec_lo
	s_and_b32 s62, s72, exec_lo
	s_delay_alu instid0(SALU_CYCLE_1)
	s_or_b32 s62, s13, s62
	s_and_not1_b32 exec_lo, exec_lo, s61
	s_cbranch_execz .LBB4_290
.LBB4_286:                              ;   Parent Loop BB4_47 Depth=1
                                        ;     Parent Loop BB4_275 Depth=2
                                        ;       Parent Loop BB4_278 Depth=3
                                        ; =>      This Inner Loop Header: Depth=4
	s_sleep 1
	s_wait_loadcnt_dscnt 0x0
	flat_load_b64 v[28:29], v[20:21] scope:SCOPE_SYS
	s_or_b32 s72, s72, exec_lo
	s_or_b32 s63, s63, exec_lo
                                        ; implicit-def: $vgpr9
	s_wait_xcnt 0x0
	s_and_saveexec_b32 s74, vcc_lo
	s_cbranch_execz .LBB4_285
; %bb.287:                              ;   in Loop: Header=BB4_286 Depth=4
	s_cmp_lt_i32 s73, 0x270f
	s_mov_b32 s75, -1
	s_cselect_b32 s77, -1, 0
	s_cmp_gt_i32 s73, 0x270e
	s_cbranch_scc0 .LBB4_289
; %bb.288:                              ;   in Loop: Header=BB4_286 Depth=4
	s_trap 2
	ds_load_b64 v[112:113], v0
	s_and_not1_b32 s73, s77, exec_lo
	s_mov_b32 s76, 0
	s_wait_storecnt 0x0
	s_wait_loadcnt_dscnt 0x0
	flat_load_b32 v9, v[112:113] scope:SCOPE_SYS
	s_wait_loadcnt_dscnt 0x0
	global_inv scope:SCOPE_SYS
	v_cmp_eq_u32_e64 s13, 0, v9
	s_and_b32 s13, s13, exec_lo
	s_delay_alu instid0(SALU_CYCLE_1)
	s_or_b32 s77, s73, s13
	s_mov_b32 s73, 0
	s_and_saveexec_b32 s78, s77
	s_cbranch_execz .LBB4_284
	s_branch .LBB4_283
.LBB4_289:                              ;   in Loop: Header=BB4_286 Depth=4
	s_add_co_i32 s73, s73, 1
	s_mov_b32 s76, -1
                                        ; implicit-def: $vgpr9
	s_and_saveexec_b32 s78, s77
	s_cbranch_execz .LBB4_284
	s_branch .LBB4_283
.LBB4_290:                              ;   in Loop: Header=BB4_278 Depth=3
	s_or_b32 exec_lo, exec_lo, s61
	s_xor_b32 s13, s62, -1
	s_delay_alu instid0(SALU_CYCLE_1) | instskip(NEXT) | instid1(SALU_CYCLE_1)
	s_and_saveexec_b32 s61, s13
	s_xor_b32 s13, exec_lo, s61
	s_cbranch_execz .LBB4_292
; %bb.291:                              ;   in Loop: Header=BB4_278 Depth=3
	v_or_b32_e32 v30, 64, v30
	s_wait_storecnt 0x0
	s_wait_loadcnt_dscnt 0x0
	ds_store_b32 v0, v9
	s_trap 2
.LBB4_292:                              ;   in Loop: Header=BB4_278 Depth=3
	s_or_b32 exec_lo, exec_lo, s13
.LBB4_293:                              ;   in Loop: Header=BB4_278 Depth=3
	s_delay_alu instid0(SALU_CYCLE_1) | instskip(SKIP_3) | instid1(VALU_DEP_1)
	s_or_b32 exec_lo, exec_lo, s60
	v_and_b32_e32 v9, 0x108, v30
	s_mov_b32 s13, exec_lo
	;;#ASMSTART
	s_wakeup
	;;#ASMEND
                                        ; implicit-def: $vgpr112_vgpr113
	v_cmpx_ne_u32_e32 0x108, v9
	s_xor_b32 s13, exec_lo, s13
; %bb.294:                              ;   in Loop: Header=BB4_278 Depth=3
	v_dual_mov_b32 v113, v3 :: v_dual_bitop2_b32 v112, 7, v86 bitop3:0x40
                                        ; implicit-def: $vgpr86_vgpr87
; %bb.295:                              ;   in Loop: Header=BB4_278 Depth=3
	s_and_not1_saveexec_b32 s13, s13
	s_cbranch_execz .LBB4_297
; %bb.296:                              ;   in Loop: Header=BB4_278 Depth=3
	v_dual_ashrrev_i32 v9, 31, v8 :: v_dual_bitop2_b32 v112, 7, v86 bitop3:0x40
	v_mov_b32_e32 v113, v3
	s_delay_alu instid0(VALU_DEP_2) | instskip(NEXT) | instid1(VALU_DEP_3)
	v_mad_nc_u64_u32 v[86:87], v112, 24, v[6:7]
	v_lshlrev_b64_e32 v[114:115], 2, v[8:9]
	flat_store_b64 v[86:87], v[114:115] offset:8
.LBB4_297:                              ;   in Loop: Header=BB4_278 Depth=3
	s_wait_xcnt 0x0
	s_or_b32 exec_lo, exec_lo, s13
	v_and_b32_e32 v9, 0x100, v30
	s_mov_b32 s13, -1
	s_mov_b32 s60, exec_lo
                                        ; implicit-def: $vgpr86_vgpr87
	s_delay_alu instid0(VALU_DEP_1)
	v_cmpx_ne_u32_e32 0, v9
	s_cbranch_execz .LBB4_301
; %bb.298:                              ;   in Loop: Header=BB4_278 Depth=3
	v_mad_nc_u64_u32 v[114:115], v112, 24, v[6:7]
	s_mov_b32 s61, exec_lo
                                        ; implicit-def: $vgpr86_vgpr87
	s_delay_alu instid0(VALU_DEP_1)
	v_mad_u32 v115, v113, 24, v115
	flat_load_b32 v9, v[114:115]
	s_wait_loadcnt_dscnt 0x0
	v_cmp_ne_u32_e32 vcc_lo, 1, v9
	s_wait_xcnt 0x0
	v_cmpx_eq_u32_e32 1, v9
	s_cbranch_execz .LBB4_300
; %bb.299:                              ;   in Loop: Header=BB4_278 Depth=3
	flat_load_b32 v86, v[114:115] offset:4 scope:SCOPE_SYS
	s_wait_loadcnt_dscnt 0x0
	v_ashrrev_i32_e32 v87, 31, v86
	s_delay_alu instid0(VALU_DEP_1)
	v_lshrrev_b64 v[86:87], 2, v[86:87]
.LBB4_300:                              ;   in Loop: Header=BB4_278 Depth=3
	s_wait_xcnt 0x0
	s_or_b32 exec_lo, exec_lo, s61
	s_delay_alu instid0(SALU_CYCLE_1)
	s_or_not1_b32 s13, vcc_lo, exec_lo
.LBB4_301:                              ;   in Loop: Header=BB4_278 Depth=3
	s_or_b32 exec_lo, exec_lo, s60
	s_and_saveexec_b32 s60, s13
; %bb.302:                              ;   in Loop: Header=BB4_278 Depth=3
	v_mul_u64_e32 v[86:87], v[112:113], v[22:23]
; %bb.303:                              ;   in Loop: Header=BB4_278 Depth=3
	s_or_b32 exec_lo, exec_lo, s60
	v_cmp_eq_u32_e32 vcc_lo, 0, v2
	v_and_b32_e32 v9, 0x2000, v30
	s_delay_alu instid0(VALU_DEP_3) | instskip(SKIP_2) | instid1(VALU_DEP_1)
	v_lshl_add_u64 v[86:87], v[86:87], 2, v[24:25]
	s_mov_b32 s13, exec_lo
	v_cndmask_b32_e32 v2, 0xc8, v58, vcc_lo
	v_add_nc_u32_e32 v2, v0, v2
	ds_store_b64 v2, v[86:87] offset:584
	v_cmpx_ne_u32_e32 0, v9
	s_cbranch_execz .LBB4_305
; %bb.304:                              ;   in Loop: Header=BB4_278 Depth=3
	ds_load_b64 v[86:87], v0 offset:872
	s_wait_dscnt 0x0
	v_add_nc_u64_e32 v[86:87], 1, v[86:87]
	ds_store_b64 v0, v[86:87] offset:872
.LBB4_305:                              ;   in Loop: Header=BB4_278 Depth=3
	s_or_b32 exec_lo, exec_lo, s13
	v_mov_b64_e32 v[86:87], v[102:103]
.LBB4_306:                              ;   in Loop: Header=BB4_278 Depth=3
	s_or_b32 exec_lo, exec_lo, s41
	s_and_saveexec_b32 s13, s2
	s_cbranch_execz .LBB4_325
; %bb.307:                              ;   in Loop: Header=BB4_278 Depth=3
	s_and_saveexec_b32 s41, s3
	s_delay_alu instid0(SALU_CYCLE_1)
	s_xor_b32 s41, exec_lo, s41
	s_cbranch_execz .LBB4_322
; %bb.308:                              ;   in Loop: Header=BB4_278 Depth=3
	s_and_saveexec_b32 s60, s6
	s_cbranch_execz .LBB4_321
; %bb.309:                              ;   in Loop: Header=BB4_278 Depth=3
	s_mov_b32 s62, exec_lo
	s_mov_b32 s61, exec_lo
	v_mbcnt_lo_u32_b32 v2, s62, 0
	global_wb scope:SCOPE_DEV
	s_wait_storecnt 0x0
	s_wait_loadcnt_dscnt 0x0
	global_inv scope:SCOPE_DEV
	v_cmpx_eq_u32_e32 0, v2
	s_cbranch_execz .LBB4_311
; %bb.310:                              ;   in Loop: Header=BB4_278 Depth=3
	s_bcnt1_i32_b32 s62, s62
	s_delay_alu instid0(SALU_CYCLE_1)
	v_mov_b32_e32 v2, s62
	s_wait_loadcnt 0x0
	ds_add_u64 v0, v[2:3]
	s_trap 2
.LBB4_311:                              ;   in Loop: Header=BB4_278 Depth=3
	s_or_b32 exec_lo, exec_lo, s61
	s_trap 2
	ds_load_b64 v[102:103], v0
	s_wait_dscnt 0x0
	v_add_nc_u64_e32 v[12:13], v[12:13], v[32:33]
	s_mov_b32 s61, exec_lo
	s_delay_alu instid0(VALU_DEP_1)
	v_cmpx_lt_u64_e64 v[102:103], v[12:13]
	s_cbranch_execz .LBB4_320
; %bb.312:                              ;   in Loop: Header=BB4_278 Depth=3
	s_mov_b32 s62, 0
	s_mov_b32 s73, 0
                                        ; implicit-def: $sgpr63
                                        ; implicit-def: $sgpr72
	s_branch .LBB4_314
.LBB4_313:                              ;   in Loop: Header=BB4_314 Depth=4
	s_or_b32 exec_lo, exec_lo, s75
	s_delay_alu instid0(SALU_CYCLE_1) | instskip(NEXT) | instid1(SALU_CYCLE_1)
	s_and_b32 s74, exec_lo, s76
	s_or_b32 s62, s74, s62
	s_and_not1_b32 s63, s63, exec_lo
	s_and_b32 s74, s72, exec_lo
	s_delay_alu instid0(SALU_CYCLE_1)
	s_or_b32 s63, s63, s74
	s_and_not1_b32 exec_lo, exec_lo, s62
	s_cbranch_execz .LBB4_318
.LBB4_314:                              ;   Parent Loop BB4_47 Depth=1
                                        ;     Parent Loop BB4_275 Depth=2
                                        ;       Parent Loop BB4_278 Depth=3
                                        ; =>      This Inner Loop Header: Depth=4
	s_add_co_i32 s73, s73, 1
	s_delay_alu instid0(SALU_CYCLE_1) | instskip(SKIP_1) | instid1(SALU_CYCLE_1)
	s_cmp_lg_u32 s73, 0x2710
	s_cselect_b32 s74, -1, 0
	s_and_b32 vcc_lo, exec_lo, s74
	s_cbranch_vccz .LBB4_316
; %bb.315:                              ;   in Loop: Header=BB4_314 Depth=4
	s_mov_b32 s76, -1
	s_or_b32 s72, s72, exec_lo
	s_and_saveexec_b32 s75, s74
	s_cbranch_execz .LBB4_313
	s_branch .LBB4_317
.LBB4_316:                              ;   in Loop: Header=BB4_314 Depth=4
	s_trap 2
	ds_load_b64 v[102:103], v0
	s_and_not1_b32 s74, s74, exec_lo
	s_mov_b32 s73, 0
	s_wait_loadcnt_dscnt 0x0
	flat_load_b32 v2, v[102:103] scope:SCOPE_SYS
	s_wait_loadcnt_dscnt 0x0
	global_inv scope:SCOPE_SYS
	v_cmp_eq_u32_e32 vcc_lo, 0, v2
	s_and_b32 s75, vcc_lo, exec_lo
	s_delay_alu instid0(SALU_CYCLE_1)
	s_or_b32 s74, s74, s75
	s_mov_b32 s76, -1
	s_or_b32 s72, s72, exec_lo
	s_and_saveexec_b32 s75, s74
	s_cbranch_execz .LBB4_313
.LBB4_317:                              ;   in Loop: Header=BB4_314 Depth=4
	s_sleep 1
	s_trap 2
	ds_load_b64 v[102:103], v0
	s_wait_dscnt 0x0
	s_and_not1_b32 s72, s72, exec_lo
	v_cmp_ge_u64_e32 vcc_lo, v[102:103], v[12:13]
	s_or_not1_b32 s76, vcc_lo, exec_lo
	s_branch .LBB4_313
.LBB4_318:                              ;   in Loop: Header=BB4_278 Depth=3
	s_or_b32 exec_lo, exec_lo, s62
	s_and_saveexec_b32 s62, s63
	s_delay_alu instid0(SALU_CYCLE_1)
	s_xor_b32 s62, exec_lo, s62
	s_cbranch_execz .LBB4_320
; %bb.319:                              ;   in Loop: Header=BB4_278 Depth=3
	ds_store_b32 v0, v57
	s_trap 2
.LBB4_320:                              ;   in Loop: Header=BB4_278 Depth=3
	s_or_b32 exec_lo, exec_lo, s61
	;;#ASMSTART
	s_wakeup
	;;#ASMEND
.LBB4_321:                              ;   in Loop: Header=BB4_278 Depth=3
	s_or_b32 exec_lo, exec_lo, s60
.LBB4_322:                              ;   in Loop: Header=BB4_278 Depth=3
	s_and_not1_saveexec_b32 s41, s41
	s_cbranch_execz .LBB4_324
; %bb.323:                              ;   in Loop: Header=BB4_278 Depth=3
	global_wb scope:SCOPE_DEV
	s_wait_storecnt 0x0
	s_wait_loadcnt_dscnt 0x0
	global_inv scope:SCOPE_DEV
	s_barrier_signal -1
	s_barrier_wait -1
.LBB4_324:                              ;   in Loop: Header=BB4_278 Depth=3
	s_or_b32 exec_lo, exec_lo, s41
.LBB4_325:                              ;   in Loop: Header=BB4_278 Depth=3
	s_delay_alu instid0(SALU_CYCLE_1) | instskip(SKIP_4) | instid1(VALU_DEP_1)
	s_or_b32 exec_lo, exec_lo, s13
	s_trap 2
	ds_load_b32 v9, v0
	v_and_b32_e32 v2, 0x4000, v30
	s_xor_b32 s13, s1, -1
	v_cmp_ne_u32_e32 vcc_lo, 0, v2
	s_and_b32 s41, s13, vcc_lo
	s_delay_alu instid0(SALU_CYCLE_1)
	s_and_saveexec_b32 s13, s41
	s_cbranch_execz .LBB4_344
; %bb.326:                              ;   in Loop: Header=BB4_278 Depth=3
	s_and_saveexec_b32 s41, s3
	s_delay_alu instid0(SALU_CYCLE_1)
	s_xor_b32 s41, exec_lo, s41
	s_cbranch_execz .LBB4_341
; %bb.327:                              ;   in Loop: Header=BB4_278 Depth=3
	s_and_saveexec_b32 s60, s6
	s_cbranch_execz .LBB4_340
; %bb.328:                              ;   in Loop: Header=BB4_278 Depth=3
	s_mov_b32 s62, exec_lo
	s_mov_b32 s61, exec_lo
	v_mbcnt_lo_u32_b32 v2, s62, 0
	global_wb scope:SCOPE_DEV
	s_wait_storecnt 0x0
	s_wait_loadcnt_dscnt 0x0
	global_inv scope:SCOPE_DEV
	v_cmpx_eq_u32_e32 0, v2
	s_cbranch_execz .LBB4_330
; %bb.329:                              ;   in Loop: Header=BB4_278 Depth=3
	s_bcnt1_i32_b32 s62, s62
	s_delay_alu instid0(SALU_CYCLE_1)
	v_mov_b32_e32 v2, s62
	s_wait_loadcnt 0x0
	ds_add_u64 v0, v[2:3]
	s_trap 2
.LBB4_330:                              ;   in Loop: Header=BB4_278 Depth=3
	s_or_b32 exec_lo, exec_lo, s61
	s_trap 2
	ds_load_b64 v[102:103], v0
	s_wait_dscnt 0x0
	v_add_nc_u64_e32 v[12:13], v[12:13], v[32:33]
	s_mov_b32 s61, exec_lo
	s_delay_alu instid0(VALU_DEP_1)
	v_cmpx_lt_u64_e64 v[102:103], v[12:13]
	s_cbranch_execz .LBB4_339
; %bb.331:                              ;   in Loop: Header=BB4_278 Depth=3
	s_mov_b32 s62, 0
	s_mov_b32 s73, 0
                                        ; implicit-def: $sgpr63
                                        ; implicit-def: $sgpr72
	s_branch .LBB4_333
.LBB4_332:                              ;   in Loop: Header=BB4_333 Depth=4
	s_or_b32 exec_lo, exec_lo, s75
	s_delay_alu instid0(SALU_CYCLE_1) | instskip(NEXT) | instid1(SALU_CYCLE_1)
	s_and_b32 s74, exec_lo, s76
	s_or_b32 s62, s74, s62
	s_and_not1_b32 s63, s63, exec_lo
	s_and_b32 s74, s72, exec_lo
	s_delay_alu instid0(SALU_CYCLE_1)
	s_or_b32 s63, s63, s74
	s_and_not1_b32 exec_lo, exec_lo, s62
	s_cbranch_execz .LBB4_337
.LBB4_333:                              ;   Parent Loop BB4_47 Depth=1
                                        ;     Parent Loop BB4_275 Depth=2
                                        ;       Parent Loop BB4_278 Depth=3
                                        ; =>      This Inner Loop Header: Depth=4
	s_add_co_i32 s73, s73, 1
	s_delay_alu instid0(SALU_CYCLE_1) | instskip(SKIP_1) | instid1(SALU_CYCLE_1)
	s_cmp_lg_u32 s73, 0x2710
	s_cselect_b32 s74, -1, 0
	s_and_b32 vcc_lo, exec_lo, s74
	s_cbranch_vccz .LBB4_335
; %bb.334:                              ;   in Loop: Header=BB4_333 Depth=4
	s_mov_b32 s76, -1
	s_or_b32 s72, s72, exec_lo
	s_and_saveexec_b32 s75, s74
	s_cbranch_execz .LBB4_332
	s_branch .LBB4_336
.LBB4_335:                              ;   in Loop: Header=BB4_333 Depth=4
	s_trap 2
	ds_load_b64 v[102:103], v0
	s_and_not1_b32 s74, s74, exec_lo
	s_mov_b32 s73, 0
	s_wait_loadcnt_dscnt 0x0
	flat_load_b32 v2, v[102:103] scope:SCOPE_SYS
	s_wait_loadcnt_dscnt 0x0
	global_inv scope:SCOPE_SYS
	v_cmp_eq_u32_e32 vcc_lo, 0, v2
	s_and_b32 s75, vcc_lo, exec_lo
	s_delay_alu instid0(SALU_CYCLE_1)
	s_or_b32 s74, s74, s75
	s_mov_b32 s76, -1
	s_or_b32 s72, s72, exec_lo
	s_and_saveexec_b32 s75, s74
	s_cbranch_execz .LBB4_332
.LBB4_336:                              ;   in Loop: Header=BB4_333 Depth=4
	s_sleep 1
	s_trap 2
	ds_load_b64 v[102:103], v0
	s_wait_dscnt 0x0
	s_and_not1_b32 s72, s72, exec_lo
	v_cmp_ge_u64_e32 vcc_lo, v[102:103], v[12:13]
	s_or_not1_b32 s76, vcc_lo, exec_lo
	s_branch .LBB4_332
.LBB4_337:                              ;   in Loop: Header=BB4_278 Depth=3
	s_or_b32 exec_lo, exec_lo, s62
	s_and_saveexec_b32 s62, s63
	s_delay_alu instid0(SALU_CYCLE_1)
	s_xor_b32 s62, exec_lo, s62
	s_cbranch_execz .LBB4_339
; %bb.338:                              ;   in Loop: Header=BB4_278 Depth=3
	ds_store_b32 v0, v57
	s_trap 2
.LBB4_339:                              ;   in Loop: Header=BB4_278 Depth=3
	s_or_b32 exec_lo, exec_lo, s61
	;;#ASMSTART
	s_wakeup
	;;#ASMEND
.LBB4_340:                              ;   in Loop: Header=BB4_278 Depth=3
	s_or_b32 exec_lo, exec_lo, s60
.LBB4_341:                              ;   in Loop: Header=BB4_278 Depth=3
	s_and_not1_saveexec_b32 s41, s41
	s_cbranch_execz .LBB4_343
; %bb.342:                              ;   in Loop: Header=BB4_278 Depth=3
	global_wb scope:SCOPE_DEV
	s_wait_storecnt 0x0
	s_wait_loadcnt_dscnt 0x0
	global_inv scope:SCOPE_DEV
	s_barrier_signal -1
	s_barrier_wait -1
.LBB4_343:                              ;   in Loop: Header=BB4_278 Depth=3
	s_or_b32 exec_lo, exec_lo, s41
.LBB4_344:                              ;   in Loop: Header=BB4_278 Depth=3
	s_delay_alu instid0(SALU_CYCLE_1)
	s_or_b32 exec_lo, exec_lo, s13
	s_trap 2
	ds_load_b64 v[102:103], v0
	s_wait_dscnt 0x0
	v_cmp_eq_u64_e32 vcc_lo, 0, v[102:103]
	s_cbranch_vccnz .LBB4_352
; %bb.345:                              ;   in Loop: Header=BB4_278 Depth=3
	s_trap 2
	ds_load_b64 v[112:113], v0
	s_wait_dscnt 0x0
	v_cmp_eq_u64_e32 vcc_lo, 0, v[112:113]
	s_cbranch_vccnz .LBB4_352
; %bb.346:                              ;   in Loop: Header=BB4_278 Depth=3
	s_mov_b32 s13, -1
	s_and_saveexec_b32 s41, s12
	s_cbranch_execz .LBB4_348
; %bb.347:                              ;   in Loop: Header=BB4_278 Depth=3
	ds_load_b32 v2, v0 offset:720
	s_wait_dscnt 0x0
	v_and_b32_e32 v2, 15, v2
	s_delay_alu instid0(VALU_DEP_1)
	v_cmp_eq_u32_e32 vcc_lo, 0, v2
	s_or_not1_b32 s13, vcc_lo, exec_lo
.LBB4_348:                              ;   in Loop: Header=BB4_278 Depth=3
	s_or_b32 exec_lo, exec_lo, s41
	s_and_saveexec_b32 s41, s11
	s_cbranch_execz .LBB4_350
; %bb.349:                              ;   in Loop: Header=BB4_278 Depth=3
	ds_load_b32 v2, v0 offset:784
	s_wait_dscnt 0x0
	v_and_b32_e32 v2, 15, v2
	s_delay_alu instid0(VALU_DEP_1) | instskip(SKIP_3) | instid1(SALU_CYCLE_1)
	v_cmp_eq_u32_e32 vcc_lo, 0, v2
	s_and_b32 s60, s13, vcc_lo
	s_and_not1_b32 s13, s13, exec_lo
	s_and_b32 s60, s60, exec_lo
	s_or_b32 s13, s13, s60
.LBB4_350:                              ;   in Loop: Header=BB4_278 Depth=3
	s_or_b32 exec_lo, exec_lo, s41
	v_cmp_eq_u32_e32 vcc_lo, 0, v9
	s_xor_b32 s13, s13, -1
	s_mov_b32 s60, -1
	v_cndmask_b32_e64 v11, 0, 1, s13
	v_cndmask_b32_e32 v2, 0, v8, vcc_lo
	s_delay_alu instid0(VALU_DEP_2) | instskip(NEXT) | instid1(VALU_DEP_2)
	v_cmp_ne_u32_e32 vcc_lo, 0, v11
	v_dual_mov_b32 v11, 0 :: v_dual_lshlrev_b32 v9, 2, v2
	s_cbranch_vccz .LBB4_357
; %bb.351:                              ;   in Loop: Header=BB4_278 Depth=3
	v_dual_mov_b32 v41, v0 :: v_dual_mov_b32 v114, v60
	s_and_saveexec_b32 s13, s60
	s_cbranch_execnz .LBB4_370
	s_branch .LBB4_378
.LBB4_352:                              ;   in Loop: Header=BB4_278 Depth=3
	s_mov_b32 s13, 0
	s_and_saveexec_b32 s41, s2
	s_cbranch_execnz .LBB4_379
.LBB4_353:                              ;   in Loop: Header=BB4_278 Depth=3
	s_or_b32 exec_lo, exec_lo, s41
                                        ; implicit-def: $vgpr2
	s_and_saveexec_b32 s41, s10
	s_delay_alu instid0(SALU_CYCLE_1)
	s_xor_b32 s41, exec_lo, s41
	s_cbranch_execz .LBB4_397
.LBB4_354:                              ;   in Loop: Header=BB4_278 Depth=3
	v_and_b32_e32 v2, 16, v30
	s_delay_alu instid0(VALU_DEP_1) | instskip(SKIP_2) | instid1(SALU_CYCLE_1)
	v_cmp_ne_u32_e32 vcc_lo, 0, v2
	v_and_b32_e32 v2, 16, v30
	s_and_b32 s60, vcc_lo, s13
	s_and_saveexec_b32 s13, s60
	s_cbranch_execz .LBB4_356
; %bb.355:                              ;   in Loop: Header=BB4_278 Depth=3
	v_mov_b32_e32 v2, 1
	global_wb scope:SCOPE_SYS
	s_wait_storecnt 0x0
	s_wait_loadcnt_dscnt 0x0
	global_inv scope:SCOPE_SYS
.LBB4_356:                              ;   in Loop: Header=BB4_278 Depth=3
	s_or_b32 exec_lo, exec_lo, s13
	s_and_not1_saveexec_b32 s13, s41
	s_cbranch_execz .LBB4_416
	s_branch .LBB4_398
.LBB4_357:                              ;   in Loop: Header=BB4_278 Depth=3
	s_delay_alu instid0(VALU_DEP_1) | instskip(SKIP_1) | instid1(VALU_DEP_1)
	v_ashrrev_i32_e32 v11, 31, v9
	s_mov_b32 s13, exec_lo
	v_lshrrev_b32_e32 v11, 22, v11
	s_delay_alu instid0(VALU_DEP_1) | instskip(NEXT) | instid1(VALU_DEP_1)
	v_add_nc_u32_e32 v11, v9, v11
	v_ashrrev_i32_e32 v11, 10, v11
	s_delay_alu instid0(VALU_DEP_1) | instskip(NEXT) | instid1(VALU_DEP_1)
	v_sub_nc_u32_e32 v43, v11, v60
	v_cmpx_lt_i32_e32 0, v43
	s_cbranch_execz .LBB4_361
; %bb.358:                              ;   in Loop: Header=BB4_278 Depth=3
	s_trap 2
	ds_load_b64 v[116:117], v0
	v_add_nc_u64_e32 v[114:115], v[102:103], v[82:83]
	v_add_nc_u64_e32 v[118:119], v[112:113], v[82:83]
	s_mov_b32 s41, 0
	s_wait_dscnt 0x0
	v_add_nc_u64_e32 v[116:117], v[116:117], v[82:83]
.LBB4_359:                              ;   Parent Loop BB4_47 Depth=1
                                        ;     Parent Loop BB4_275 Depth=2
                                        ;       Parent Loop BB4_278 Depth=3
                                        ; =>      This Inner Loop Header: Depth=4
	global_load_b128 v[44:47], v[116:117], off th:TH_LOAD_NT
	s_clause 0x1
	global_load_b128 v[72:75], v[114:115], off th:TH_LOAD_NT
	global_load_b128 v[76:79], v[114:115], off offset:512 th:TH_LOAD_NT
	global_load_b128 v[88:91], v[116:117], off offset:512 th:TH_LOAD_NT
	v_sub_nc_u32_e32 v43, v43, v32
	s_wait_xcnt 0x1
	v_add_nc_u64_e32 v[114:115], v[114:115], v[54:55]
	s_wait_xcnt 0x0
	v_add_nc_u64_e32 v[116:117], v[116:117], v[54:55]
	s_wait_loadcnt 0x2
	v_dual_mul_f32 v44, v72, v44 :: v_dual_mul_f32 v46, v74, v46
	v_dual_mul_f32 v45, v73, v45 :: v_dual_mul_f32 v47, v75, v47
	s_wait_loadcnt 0x0
	v_dual_mul_f32 v72, v76, v88 :: v_dual_mul_f32 v73, v77, v89
	v_dual_mul_f32 v74, v78, v90 :: v_dual_mul_f32 v75, v79, v91
	v_cmp_gt_i32_e32 vcc_lo, 1, v43
	s_clause 0x1
	global_store_b128 v[118:119], v[44:47], off th:TH_STORE_NT
	global_store_b128 v[118:119], v[72:75], off offset:512 th:TH_STORE_NT
	s_wait_xcnt 0x0
	v_add_nc_u64_e32 v[118:119], v[118:119], v[54:55]
	s_or_b32 s41, vcc_lo, s41
	s_delay_alu instid0(SALU_CYCLE_1)
	s_and_not1_b32 exec_lo, exec_lo, s41
	s_cbranch_execnz .LBB4_359
; %bb.360:                              ;   in Loop: Header=BB4_278 Depth=3
	s_or_b32 exec_lo, exec_lo, s41
.LBB4_361:                              ;   in Loop: Header=BB4_278 Depth=3
	s_delay_alu instid0(SALU_CYCLE_1) | instskip(SKIP_3) | instid1(VALU_DEP_1)
	s_or_b32 exec_lo, exec_lo, s13
	v_dual_mov_b32 v11, 0 :: v_dual_lshlrev_b32 v42, 10, v11
	s_mov_b32 s60, 0
	s_mov_b32 s41, exec_lo
                                        ; implicit-def: $vgpr41
                                        ; implicit-def: $vgpr114
	v_cmpx_ne_u32_e64 v9, v42
	s_cbranch_execz .LBB4_369
; %bb.362:                              ;   in Loop: Header=BB4_278 Depth=3
	v_dual_lshlrev_b32 v11, 5, v43 :: v_dual_sub_nc_u32 v115, v9, v42
	s_mov_b32 s60, exec_lo
	s_delay_alu instid0(VALU_DEP_1) | instskip(NEXT) | instid1(VALU_DEP_2)
	v_sub_nc_u32_e32 v11, v61, v11
	v_ashrrev_i32_e32 v116, 31, v115
	s_delay_alu instid0(VALU_DEP_1) | instskip(NEXT) | instid1(VALU_DEP_1)
	v_dual_ashrrev_i32 v114, 31, v11 :: v_dual_lshrrev_b32 v116, 23, v116
	v_lshrrev_b32_e32 v114, 27, v114
	s_delay_alu instid0(VALU_DEP_1) | instskip(NEXT) | instid1(VALU_DEP_3)
	v_add_nc_u32_e32 v114, v11, v114
	v_add_nc_u32_e32 v116, v115, v116
	s_delay_alu instid0(VALU_DEP_2) | instskip(NEXT) | instid1(VALU_DEP_1)
	v_and_b32_e32 v117, 0xffffffe0, v114
	v_dual_sub_nc_u32 v44, v11, v117 :: v_dual_ashrrev_i32 v117, 5, v114
	s_delay_alu instid0(VALU_DEP_3) | instskip(SKIP_1) | instid1(VALU_DEP_2)
	v_and_b32_e32 v43, 0xfffffe00, v116
	v_ashrrev_i32_e32 v116, 9, v116
	v_dual_lshlrev_b32 v11, 4, v44 :: v_dual_sub_nc_u32 v45, v115, v43
	s_delay_alu instid0(VALU_DEP_1) | instskip(NEXT) | instid1(VALU_DEP_2)
	v_lshl_add_u32 v114, v117, 9, v11
	v_cmp_lt_i32_e32 vcc_lo, 15, v45
	s_delay_alu instid0(VALU_DEP_4) | instskip(NEXT) | instid1(VALU_DEP_1)
	v_add_co_ci_u32_e64 v116, null, 0, v116, vcc_lo
	v_dual_sub_nc_u32 v11, v115, v114 :: v_dual_sub_nc_u32 v46, v116, v117
	s_delay_alu instid0(VALU_DEP_1)
	v_cmpx_lt_i32_e32 15, v11
	s_cbranch_execz .LBB4_366
; %bb.363:                              ;   in Loop: Header=BB4_278 Depth=3
	s_trap 2
	ds_load_b64 v[116:117], v0
	v_add_nc_u32_e32 v118, v114, v42
	s_mov_b32 s61, 0
	s_delay_alu instid0(VALU_DEP_1) | instskip(NEXT) | instid1(VALU_DEP_1)
	v_ashrrev_i32_e32 v119, 31, v118
	v_add_nc_u64_e32 v[114:115], v[118:119], v[102:103]
	s_wait_dscnt 0x0
	v_add_nc_u64_e32 v[116:117], v[116:117], v[118:119]
	v_add_nc_u64_e32 v[118:119], v[118:119], v[112:113]
.LBB4_364:                              ;   Parent Loop BB4_47 Depth=1
                                        ;     Parent Loop BB4_275 Depth=2
                                        ;       Parent Loop BB4_278 Depth=3
                                        ; =>      This Inner Loop Header: Depth=4
	global_load_b128 v[72:75], v[114:115], off th:TH_LOAD_NT
	global_load_b128 v[76:79], v[116:117], off th:TH_LOAD_NT
	v_sub_nc_u32_e32 v11, v11, v50
	s_wait_xcnt 0x1
	v_add_nc_u64_e32 v[114:115], v[114:115], v[50:51]
	s_wait_xcnt 0x0
	v_add_nc_u64_e32 v[116:117], v[116:117], v[50:51]
	s_wait_loadcnt 0x0
	v_dual_mul_f32 v75, v75, v79 :: v_dual_sub_nc_u32 v46, v46, v32
	v_dual_mul_f32 v72, v72, v76 :: v_dual_mul_f32 v73, v73, v77
	v_mul_f32_e32 v74, v74, v78
	v_cmp_gt_i32_e64 s13, 16, v11
	global_store_b128 v[118:119], v[72:75], off th:TH_STORE_NT
	s_wait_xcnt 0x0
	v_add_nc_u64_e32 v[118:119], v[118:119], v[50:51]
	s_or_b32 s61, s13, s61
	s_delay_alu instid0(SALU_CYCLE_1)
	s_and_not1_b32 exec_lo, exec_lo, s61
	s_cbranch_execnz .LBB4_364
; %bb.365:                              ;   in Loop: Header=BB4_278 Depth=3
	s_or_b32 exec_lo, exec_lo, s61
.LBB4_366:                              ;   in Loop: Header=BB4_278 Depth=3
	s_delay_alu instid0(SALU_CYCLE_1) | instskip(SKIP_3) | instid1(VALU_DEP_1)
	s_or_b32 exec_lo, exec_lo, s60
	v_dual_mov_b32 v11, 0 :: v_dual_bitop2_b32 v115, 12, v9 bitop3:0x40
	s_mov_b32 s60, 0
	s_mov_b32 s61, exec_lo
                                        ; implicit-def: $vgpr41
                                        ; implicit-def: $vgpr114
	v_cndmask_b32_e32 v9, v45, v115, vcc_lo
	s_delay_alu instid0(VALU_DEP_1)
	v_cmpx_ne_u32_e32 0, v9
	s_cbranch_execz .LBB4_368
; %bb.367:                              ;   in Loop: Header=BB4_278 Depth=3
	v_cmp_lt_i32_e64 s13, 0, v46
	s_mov_b32 s60, exec_lo
	v_dual_sub_nc_u32 v114, v45, v115 :: v_dual_cndmask_b32 v11, 0, v32, s13
	s_delay_alu instid0(VALU_DEP_1) | instskip(NEXT) | instid1(VALU_DEP_2)
	v_cndmask_b32_e32 v114, 0, v114, vcc_lo
	v_sub_nc_u32_e32 v11, v11, v46
	s_delay_alu instid0(VALU_DEP_1) | instskip(NEXT) | instid1(VALU_DEP_1)
	v_lshl_add_u32 v41, v11, 5, v44
	v_ashrrev_i32_e32 v11, 31, v41
	s_delay_alu instid0(VALU_DEP_1) | instskip(NEXT) | instid1(VALU_DEP_1)
	v_lshrrev_b32_e32 v11, 27, v11
	v_add_nc_u32_e32 v115, v41, v11
	v_add3_u32 v11, v43, v42, v114
	s_delay_alu instid0(VALU_DEP_2)
	v_ashrrev_i32_e32 v114, 5, v115
.LBB4_368:                              ;   in Loop: Header=BB4_278 Depth=3
	s_or_b32 exec_lo, exec_lo, s61
	s_delay_alu instid0(SALU_CYCLE_1)
	s_and_b32 s60, s60, exec_lo
.LBB4_369:                              ;   in Loop: Header=BB4_278 Depth=3
	s_or_b32 exec_lo, exec_lo, s41
	s_and_saveexec_b32 s13, s60
	s_cbranch_execz .LBB4_378
.LBB4_370:                              ;   in Loop: Header=BB4_278 Depth=3
	v_ashrrev_i32_e32 v115, 31, v9
	s_mov_b32 s41, exec_lo
	s_delay_alu instid0(VALU_DEP_1) | instskip(NEXT) | instid1(VALU_DEP_1)
	v_lshrrev_b32_e32 v115, 23, v115
	v_add_nc_u32_e32 v115, v9, v115
	s_delay_alu instid0(VALU_DEP_1) | instskip(NEXT) | instid1(VALU_DEP_1)
	v_dual_ashrrev_i32 v44, 9, v115 :: v_dual_ashrrev_i32 v115, 31, v41
	v_dual_sub_nc_u32 v42, v44, v114 :: v_dual_lshrrev_b32 v43, 27, v115
	s_delay_alu instid0(VALU_DEP_1)
	v_cmpx_lt_i32_e32 0, v42
	s_cbranch_execz .LBB4_374
; %bb.371:                              ;   in Loop: Header=BB4_278 Depth=3
	s_delay_alu instid0(VALU_DEP_2) | instskip(SKIP_4) | instid1(VALU_DEP_1)
	v_dual_add_nc_u32 v115, v41, v43 :: v_dual_lshlrev_b32 v114, 9, v114
	s_trap 2
	ds_load_b64 v[116:117], v0
	s_mov_b32 s60, 0
	v_and_b32_e32 v115, 0x3fffffe0, v115
	v_sub_nc_u32_e32 v115, v41, v115
	s_delay_alu instid0(VALU_DEP_1) | instskip(NEXT) | instid1(VALU_DEP_1)
	v_lshlrev_b32_e32 v115, 2, v115
	v_add3_u32 v118, v115, v11, v114
	s_delay_alu instid0(VALU_DEP_1) | instskip(NEXT) | instid1(VALU_DEP_1)
	v_ashrrev_i32_e32 v119, 31, v118
	v_add_nc_u64_e32 v[114:115], v[118:119], v[102:103]
	s_wait_dscnt 0x0
	v_add_nc_u64_e32 v[116:117], v[116:117], v[118:119]
	v_add_nc_u64_e32 v[118:119], v[118:119], v[112:113]
.LBB4_372:                              ;   Parent Loop BB4_47 Depth=1
                                        ;     Parent Loop BB4_275 Depth=2
                                        ;       Parent Loop BB4_278 Depth=3
                                        ; =>      This Inner Loop Header: Depth=4
	s_clause 0x3
	flat_load_b32 v45, v[114:115] th:TH_LOAD_NT
	flat_load_b32 v46, v[114:115] offset:128 th:TH_LOAD_NT
	flat_load_b32 v47, v[114:115] offset:256 th:TH_LOAD_NT
	;; [unrolled: 1-line block ×3, first 2 shown]
	s_clause 0x3
	flat_load_b32 v63, v[116:117] th:TH_LOAD_NT
	flat_load_b32 v72, v[116:117] offset:128 th:TH_LOAD_NT
	flat_load_b32 v73, v[116:117] offset:256 th:TH_LOAD_NT
	;; [unrolled: 1-line block ×3, first 2 shown]
	v_sub_nc_u32_e32 v42, v42, v32
	s_wait_xcnt 0x4
	v_add_nc_u64_e32 v[114:115], v[114:115], v[50:51]
	s_wait_xcnt 0x0
	v_add_nc_u64_e32 v[116:117], v[116:117], v[50:51]
	s_wait_loadcnt_dscnt 0x202
	v_dual_mul_f32 v45, v45, v63 :: v_dual_mul_f32 v46, v46, v72
	s_wait_loadcnt_dscnt 0x0
	v_dual_mul_f32 v47, v47, v73 :: v_dual_mul_f32 v62, v62, v74
	v_cmp_gt_i32_e32 vcc_lo, 1, v42
	s_clause 0x3
	flat_store_b32 v[118:119], v45 th:TH_STORE_NT
	flat_store_b32 v[118:119], v46 offset:128 th:TH_STORE_NT
	flat_store_b32 v[118:119], v47 offset:256 th:TH_STORE_NT
	;; [unrolled: 1-line block ×3, first 2 shown]
	s_wait_xcnt 0x0
	v_add_nc_u64_e32 v[118:119], v[118:119], v[50:51]
	s_or_b32 s60, vcc_lo, s60
	s_delay_alu instid0(SALU_CYCLE_1)
	s_and_not1_b32 exec_lo, exec_lo, s60
	s_cbranch_execnz .LBB4_372
; %bb.373:                              ;   in Loop: Header=BB4_278 Depth=3
	s_or_b32 exec_lo, exec_lo, s60
.LBB4_374:                              ;   in Loop: Header=BB4_278 Depth=3
	s_delay_alu instid0(SALU_CYCLE_1) | instskip(SKIP_1) | instid1(VALU_DEP_1)
	s_or_b32 exec_lo, exec_lo, s41
	v_lshlrev_b32_e32 v114, 9, v44
	v_cmp_ne_u32_e32 vcc_lo, v9, v114
	s_and_b32 exec_lo, exec_lo, vcc_lo
	s_cbranch_execz .LBB4_378
; %bb.375:                              ;   in Loop: Header=BB4_278 Depth=3
	v_dual_add_nc_u32 v115, v41, v43 :: v_dual_lshlrev_b32 v116, 5, v42
	s_delay_alu instid0(VALU_DEP_1) | instskip(NEXT) | instid1(VALU_DEP_1)
	v_and_b32_e32 v115, 0xffffffe0, v115
	v_sub_nc_u32_e32 v115, v41, v115
	s_delay_alu instid0(VALU_DEP_1) | instskip(NEXT) | instid1(VALU_DEP_1)
	v_sub_nc_u32_e32 v115, v115, v116
	v_ashrrev_i32_e32 v116, 31, v115
	s_delay_alu instid0(VALU_DEP_1) | instskip(NEXT) | instid1(VALU_DEP_1)
	v_lshrrev_b32_e32 v116, 27, v116
	v_add_nc_u32_e32 v116, v115, v116
	s_delay_alu instid0(VALU_DEP_1) | instskip(NEXT) | instid1(VALU_DEP_1)
	v_and_b32_e32 v117, 0x3fffffe0, v116
	v_dual_lshlrev_b32 v116, 2, v116 :: v_dual_sub_nc_u32 v115, v115, v117
	s_delay_alu instid0(VALU_DEP_1) | instskip(NEXT) | instid1(VALU_DEP_2)
	v_and_b32_e32 v116, 0xffffff80, v116
	v_lshlrev_b32_e32 v115, 2, v115
	s_delay_alu instid0(VALU_DEP_1) | instskip(NEXT) | instid1(VALU_DEP_1)
	v_add3_u32 v114, v116, v115, v114
	v_sub_nc_u32_e32 v9, v9, v114
	s_delay_alu instid0(VALU_DEP_1)
	v_cmp_lt_i32_e32 vcc_lo, 3, v9
	s_and_b32 exec_lo, exec_lo, vcc_lo
	s_cbranch_execz .LBB4_378
; %bb.376:                              ;   in Loop: Header=BB4_278 Depth=3
	s_trap 2
	ds_load_b64 v[116:117], v0
	v_add_nc_u32_e32 v118, v114, v11
	s_mov_b32 s41, 0
	s_delay_alu instid0(VALU_DEP_1) | instskip(NEXT) | instid1(VALU_DEP_1)
	v_ashrrev_i32_e32 v119, 31, v118
	v_add_nc_u64_e32 v[102:103], v[118:119], v[102:103]
	v_add_nc_u64_e32 v[112:113], v[118:119], v[112:113]
	s_wait_dscnt 0x0
	v_add_nc_u64_e32 v[114:115], v[116:117], v[118:119]
.LBB4_377:                              ;   Parent Loop BB4_47 Depth=1
                                        ;     Parent Loop BB4_275 Depth=2
                                        ;       Parent Loop BB4_278 Depth=3
                                        ; =>      This Inner Loop Header: Depth=4
	flat_load_b32 v11, v[102:103] th:TH_LOAD_NT
	flat_load_b32 v116, v[114:115] th:TH_LOAD_NT
	v_sub_nc_u32_e32 v9, v9, v52
	s_wait_xcnt 0x1
	v_add_nc_u64_e32 v[102:103], v[102:103], v[52:53]
	s_wait_xcnt 0x0
	v_add_nc_u64_e32 v[114:115], v[114:115], v[52:53]
	v_cmp_gt_i32_e32 vcc_lo, 4, v9
	s_or_b32 s41, vcc_lo, s41
	s_wait_loadcnt_dscnt 0x0
	v_mul_f32_e32 v11, v11, v116
	flat_store_b32 v[112:113], v11 th:TH_STORE_NT
	s_wait_xcnt 0x0
	v_add_nc_u64_e32 v[112:113], v[112:113], v[52:53]
	s_and_not1_b32 exec_lo, exec_lo, s41
	s_cbranch_execnz .LBB4_377
.LBB4_378:                              ;   in Loop: Header=BB4_278 Depth=3
	s_or_b32 exec_lo, exec_lo, s13
	v_cmp_lt_i32_e64 s13, 0, v2
	s_and_saveexec_b32 s41, s2
	s_cbranch_execz .LBB4_353
.LBB4_379:                              ;   in Loop: Header=BB4_278 Depth=3
	s_and_saveexec_b32 s60, s3
	s_delay_alu instid0(SALU_CYCLE_1)
	s_xor_b32 s60, exec_lo, s60
	s_cbranch_execz .LBB4_394
; %bb.380:                              ;   in Loop: Header=BB4_278 Depth=3
	s_and_saveexec_b32 s61, s6
	s_cbranch_execz .LBB4_393
; %bb.381:                              ;   in Loop: Header=BB4_278 Depth=3
	s_mov_b32 s63, exec_lo
	s_mov_b32 s62, exec_lo
	v_mbcnt_lo_u32_b32 v2, s63, 0
	global_wb scope:SCOPE_DEV
	s_wait_storecnt 0x0
	s_wait_loadcnt_dscnt 0x0
	global_inv scope:SCOPE_DEV
	v_cmpx_eq_u32_e32 0, v2
	s_cbranch_execz .LBB4_383
; %bb.382:                              ;   in Loop: Header=BB4_278 Depth=3
	s_bcnt1_i32_b32 s63, s63
	s_delay_alu instid0(SALU_CYCLE_1)
	v_mov_b32_e32 v2, s63
	s_wait_loadcnt 0x0
	ds_add_u64 v0, v[2:3]
	s_trap 2
.LBB4_383:                              ;   in Loop: Header=BB4_278 Depth=3
	s_or_b32 exec_lo, exec_lo, s62
	s_trap 2
	ds_load_b64 v[102:103], v0
	s_wait_dscnt 0x0
	v_add_nc_u64_e32 v[12:13], v[12:13], v[32:33]
	s_mov_b32 s62, exec_lo
	s_delay_alu instid0(VALU_DEP_1)
	v_cmpx_lt_u64_e64 v[102:103], v[12:13]
	s_cbranch_execz .LBB4_392
; %bb.384:                              ;   in Loop: Header=BB4_278 Depth=3
	s_mov_b32 s63, 0
	s_mov_b32 s74, 0
                                        ; implicit-def: $sgpr72
                                        ; implicit-def: $sgpr73
	s_branch .LBB4_386
.LBB4_385:                              ;   in Loop: Header=BB4_386 Depth=4
	s_or_b32 exec_lo, exec_lo, s76
	s_delay_alu instid0(SALU_CYCLE_1) | instskip(NEXT) | instid1(SALU_CYCLE_1)
	s_and_b32 s75, exec_lo, s77
	s_or_b32 s63, s75, s63
	s_and_not1_b32 s72, s72, exec_lo
	s_and_b32 s75, s73, exec_lo
	s_delay_alu instid0(SALU_CYCLE_1)
	s_or_b32 s72, s72, s75
	s_and_not1_b32 exec_lo, exec_lo, s63
	s_cbranch_execz .LBB4_390
.LBB4_386:                              ;   Parent Loop BB4_47 Depth=1
                                        ;     Parent Loop BB4_275 Depth=2
                                        ;       Parent Loop BB4_278 Depth=3
                                        ; =>      This Inner Loop Header: Depth=4
	s_add_co_i32 s74, s74, 1
	s_delay_alu instid0(SALU_CYCLE_1) | instskip(SKIP_1) | instid1(SALU_CYCLE_1)
	s_cmp_lg_u32 s74, 0x2710
	s_cselect_b32 s75, -1, 0
	s_and_b32 vcc_lo, exec_lo, s75
	s_cbranch_vccz .LBB4_388
; %bb.387:                              ;   in Loop: Header=BB4_386 Depth=4
	s_mov_b32 s77, -1
	s_or_b32 s73, s73, exec_lo
	s_and_saveexec_b32 s76, s75
	s_cbranch_execz .LBB4_385
	s_branch .LBB4_389
.LBB4_388:                              ;   in Loop: Header=BB4_386 Depth=4
	s_trap 2
	ds_load_b64 v[102:103], v0
	s_and_not1_b32 s75, s75, exec_lo
	s_mov_b32 s74, 0
	s_wait_loadcnt_dscnt 0x0
	flat_load_b32 v2, v[102:103] scope:SCOPE_SYS
	s_wait_loadcnt_dscnt 0x0
	global_inv scope:SCOPE_SYS
	v_cmp_eq_u32_e32 vcc_lo, 0, v2
	s_and_b32 s76, vcc_lo, exec_lo
	s_delay_alu instid0(SALU_CYCLE_1)
	s_or_b32 s75, s75, s76
	s_mov_b32 s77, -1
	s_or_b32 s73, s73, exec_lo
	s_and_saveexec_b32 s76, s75
	s_cbranch_execz .LBB4_385
.LBB4_389:                              ;   in Loop: Header=BB4_386 Depth=4
	s_sleep 1
	s_trap 2
	ds_load_b64 v[102:103], v0
	s_wait_dscnt 0x0
	s_and_not1_b32 s73, s73, exec_lo
	v_cmp_ge_u64_e32 vcc_lo, v[102:103], v[12:13]
	s_or_not1_b32 s77, vcc_lo, exec_lo
	s_branch .LBB4_385
.LBB4_390:                              ;   in Loop: Header=BB4_278 Depth=3
	s_or_b32 exec_lo, exec_lo, s63
	s_and_saveexec_b32 s63, s72
	s_delay_alu instid0(SALU_CYCLE_1)
	s_xor_b32 s63, exec_lo, s63
	s_cbranch_execz .LBB4_392
; %bb.391:                              ;   in Loop: Header=BB4_278 Depth=3
	ds_store_b32 v0, v57
	s_trap 2
.LBB4_392:                              ;   in Loop: Header=BB4_278 Depth=3
	s_or_b32 exec_lo, exec_lo, s62
	;;#ASMSTART
	s_wakeup
	;;#ASMEND
.LBB4_393:                              ;   in Loop: Header=BB4_278 Depth=3
	s_or_b32 exec_lo, exec_lo, s61
.LBB4_394:                              ;   in Loop: Header=BB4_278 Depth=3
	s_and_not1_saveexec_b32 s60, s60
	s_cbranch_execz .LBB4_396
; %bb.395:                              ;   in Loop: Header=BB4_278 Depth=3
	global_wb scope:SCOPE_DEV
	s_wait_storecnt 0x0
	s_wait_loadcnt_dscnt 0x0
	global_inv scope:SCOPE_DEV
	s_barrier_signal -1
	s_barrier_wait -1
.LBB4_396:                              ;   in Loop: Header=BB4_278 Depth=3
	s_or_b32 exec_lo, exec_lo, s60
	s_delay_alu instid0(SALU_CYCLE_1) | instskip(SKIP_1) | instid1(SALU_CYCLE_1)
	s_or_b32 exec_lo, exec_lo, s41
                                        ; implicit-def: $vgpr2
	s_and_saveexec_b32 s41, s10
	s_xor_b32 s41, exec_lo, s41
	s_cbranch_execnz .LBB4_354
.LBB4_397:                              ;   in Loop: Header=BB4_278 Depth=3
	s_and_not1_saveexec_b32 s13, s41
	s_cbranch_execz .LBB4_416
.LBB4_398:                              ;   in Loop: Header=BB4_278 Depth=3
	s_and_saveexec_b32 s41, s3
	s_delay_alu instid0(SALU_CYCLE_1)
	s_xor_b32 s41, exec_lo, s41
	s_cbranch_execz .LBB4_413
; %bb.399:                              ;   in Loop: Header=BB4_278 Depth=3
	s_and_saveexec_b32 s60, s6
	s_cbranch_execz .LBB4_412
; %bb.400:                              ;   in Loop: Header=BB4_278 Depth=3
	s_mov_b32 s62, exec_lo
	s_mov_b32 s61, exec_lo
	v_mbcnt_lo_u32_b32 v2, s62, 0
	;;#ASMSTART
	s_waitcnt lgkmcnt(0) vmcnt(0)
	;;#ASMEND
	s_delay_alu instid0(VALU_DEP_1)
	v_cmpx_eq_u32_e32 0, v2
	s_cbranch_execz .LBB4_402
; %bb.401:                              ;   in Loop: Header=BB4_278 Depth=3
	s_bcnt1_i32_b32 s62, s62
	s_delay_alu instid0(SALU_CYCLE_1)
	v_mov_b32_e32 v2, s62
	s_wait_storecnt 0x0
	s_wait_loadcnt_dscnt 0x0
	ds_add_u64 v0, v[2:3]
	s_trap 2
.LBB4_402:                              ;   in Loop: Header=BB4_278 Depth=3
	s_or_b32 exec_lo, exec_lo, s61
	s_trap 2
	ds_load_b64 v[102:103], v0
	s_wait_dscnt 0x0
	v_add_nc_u64_e32 v[12:13], v[12:13], v[32:33]
	s_mov_b32 s61, exec_lo
	s_delay_alu instid0(VALU_DEP_1)
	v_cmpx_lt_u64_e64 v[102:103], v[12:13]
	s_cbranch_execz .LBB4_411
; %bb.403:                              ;   in Loop: Header=BB4_278 Depth=3
	s_mov_b32 s62, 0
	s_mov_b32 s73, 0
                                        ; implicit-def: $sgpr63
                                        ; implicit-def: $sgpr72
	s_branch .LBB4_405
.LBB4_404:                              ;   in Loop: Header=BB4_405 Depth=4
	s_or_b32 exec_lo, exec_lo, s75
	s_delay_alu instid0(SALU_CYCLE_1) | instskip(NEXT) | instid1(SALU_CYCLE_1)
	s_and_b32 s74, exec_lo, s76
	s_or_b32 s62, s74, s62
	s_and_not1_b32 s63, s63, exec_lo
	s_and_b32 s74, s72, exec_lo
	s_delay_alu instid0(SALU_CYCLE_1)
	s_or_b32 s63, s63, s74
	s_and_not1_b32 exec_lo, exec_lo, s62
	s_cbranch_execz .LBB4_409
.LBB4_405:                              ;   Parent Loop BB4_47 Depth=1
                                        ;     Parent Loop BB4_275 Depth=2
                                        ;       Parent Loop BB4_278 Depth=3
                                        ; =>      This Inner Loop Header: Depth=4
	s_add_co_i32 s73, s73, 1
	s_delay_alu instid0(SALU_CYCLE_1) | instskip(SKIP_1) | instid1(SALU_CYCLE_1)
	s_cmp_lg_u32 s73, 0x2710
	s_cselect_b32 s74, -1, 0
	s_and_b32 vcc_lo, exec_lo, s74
	s_cbranch_vccz .LBB4_407
; %bb.406:                              ;   in Loop: Header=BB4_405 Depth=4
	s_mov_b32 s76, -1
	s_or_b32 s72, s72, exec_lo
	s_and_saveexec_b32 s75, s74
	s_cbranch_execz .LBB4_404
	s_branch .LBB4_408
.LBB4_407:                              ;   in Loop: Header=BB4_405 Depth=4
	s_trap 2
	ds_load_b64 v[102:103], v0
	s_and_not1_b32 s74, s74, exec_lo
	s_mov_b32 s73, 0
	s_wait_storecnt 0x0
	s_wait_loadcnt_dscnt 0x0
	flat_load_b32 v2, v[102:103] scope:SCOPE_SYS
	s_wait_loadcnt_dscnt 0x0
	global_inv scope:SCOPE_SYS
	v_cmp_eq_u32_e32 vcc_lo, 0, v2
	s_and_b32 s75, vcc_lo, exec_lo
	s_delay_alu instid0(SALU_CYCLE_1)
	s_or_b32 s74, s74, s75
	s_mov_b32 s76, -1
	s_or_b32 s72, s72, exec_lo
	s_and_saveexec_b32 s75, s74
	s_cbranch_execz .LBB4_404
.LBB4_408:                              ;   in Loop: Header=BB4_405 Depth=4
	s_sleep 1
	s_trap 2
	ds_load_b64 v[102:103], v0
	s_wait_dscnt 0x0
	s_and_not1_b32 s72, s72, exec_lo
	v_cmp_ge_u64_e32 vcc_lo, v[102:103], v[12:13]
	s_or_not1_b32 s76, vcc_lo, exec_lo
	s_branch .LBB4_404
.LBB4_409:                              ;   in Loop: Header=BB4_278 Depth=3
	s_or_b32 exec_lo, exec_lo, s62
	s_and_saveexec_b32 s62, s63
	s_delay_alu instid0(SALU_CYCLE_1)
	s_xor_b32 s62, exec_lo, s62
	s_cbranch_execz .LBB4_411
; %bb.410:                              ;   in Loop: Header=BB4_278 Depth=3
	ds_store_b32 v0, v57
	s_trap 2
.LBB4_411:                              ;   in Loop: Header=BB4_278 Depth=3
	s_or_b32 exec_lo, exec_lo, s61
	;;#ASMSTART
	s_wakeup
	;;#ASMEND
.LBB4_412:                              ;   in Loop: Header=BB4_278 Depth=3
	s_or_b32 exec_lo, exec_lo, s60
.LBB4_413:                              ;   in Loop: Header=BB4_278 Depth=3
	s_and_not1_saveexec_b32 s41, s41
	s_cbranch_execz .LBB4_415
; %bb.414:                              ;   in Loop: Header=BB4_278 Depth=3
	;;#ASMSTART
	s_waitcnt lgkmcnt(0) vmcnt(0)
	;;#ASMEND
	s_barrier_signal -1
	s_barrier_wait -1
.LBB4_415:                              ;   in Loop: Header=BB4_278 Depth=3
	s_or_b32 exec_lo, exec_lo, s41
	v_and_b32_e32 v2, 16, v30
.LBB4_416:                              ;   in Loop: Header=BB4_278 Depth=3
	s_or_b32 exec_lo, exec_lo, s13
	s_delay_alu instid0(VALU_DEP_1) | instskip(SKIP_1) | instid1(SALU_CYCLE_1)
	v_cmp_ne_u32_e32 vcc_lo, 0, v2
	s_xor_b32 s13, s4, -1
	s_and_b32 s41, vcc_lo, s13
	s_delay_alu instid0(SALU_CYCLE_1)
	s_and_saveexec_b32 s13, s41
	s_cbranch_execz .LBB4_418
; %bb.417:                              ;   in Loop: Header=BB4_278 Depth=3
	global_wb scope:SCOPE_SYS
	s_wait_storecnt 0x0
	s_wait_loadcnt_dscnt 0x0
	flat_store_b32 v[26:27], v57 scope:SCOPE_SYS
.LBB4_418:                              ;   in Loop: Header=BB4_278 Depth=3
	s_wait_xcnt 0x0
	s_or_b32 exec_lo, exec_lo, s13
	v_and_b32_e32 v2, 48, v30
	s_mov_b32 s13, exec_lo
	s_delay_alu instid0(VALU_DEP_1)
	v_cmpx_ne_u32_e32 0, v2
	s_cbranch_execz .LBB4_277
; %bb.419:                              ;   in Loop: Header=BB4_278 Depth=3
	v_add_nc_u64_e32 v[86:87], 2, v[86:87]
	global_wb scope:SCOPE_SYS
	s_wait_storecnt 0x0
	s_wait_loadcnt_dscnt 0x0
	flat_store_b64 v[20:21], v[86:87] scope:SCOPE_SYS
	s_branch .LBB4_277
.LBB4_420:                              ;   in Loop: Header=BB4_275 Depth=2
	s_or_b32 exec_lo, exec_lo, s18
.LBB4_421:                              ;   in Loop: Header=BB4_275 Depth=2
	s_delay_alu instid0(SALU_CYCLE_1) | instskip(NEXT) | instid1(SALU_CYCLE_1)
	s_or_b32 exec_lo, exec_lo, s15
	s_mov_b32 s15, exec_lo
	v_cmpx_gt_i32_e32 2, v2
	s_cbranch_execz .LBB4_274
; %bb.422:                              ;   in Loop: Header=BB4_275 Depth=2
	v_cmp_eq_u32_e64 s27, 0, v2
	s_mov_b32 s18, 0
	s_branch .LBB4_424
.LBB4_423:                              ;   in Loop: Header=BB4_424 Depth=3
	s_wait_xcnt 0x0
	s_or_b32 exec_lo, exec_lo, s13
	v_add_nc_u32_e32 v10, v8, v10
	s_mov_b32 s27, 0
	s_and_not1_b32 exec_lo, exec_lo, s18
	s_cbranch_execz .LBB4_273
.LBB4_424:                              ;   Parent Loop BB4_47 Depth=1
                                        ;     Parent Loop BB4_275 Depth=2
                                        ; =>    This Loop Header: Depth=3
                                        ;         Child Loop BB4_430 Depth 4
                                        ;         Child Loop BB4_458 Depth 4
	;; [unrolled: 1-line block ×3, first 2 shown]
	s_delay_alu instid0(VALU_DEP_1) | instskip(SKIP_2) | instid1(VALU_DEP_2)
	v_sub_nc_u32_e32 v2, v40, v10
	v_and_b32_e32 v9, 12, v30
	s_mov_b32 s40, exec_lo
	v_min_i32_e32 v8, v8, v2
	s_delay_alu instid0(VALU_DEP_2)
	v_cmpx_ne_u32_e32 0, v9
	s_cbranch_execz .LBB4_450
; %bb.425:                              ;   in Loop: Header=BB4_424 Depth=3
	v_and_b32_e32 v2, 8, v30
	v_add_nc_u64_e32 v[100:101], 2, v[86:87]
	s_mov_b32 s41, exec_lo
	s_wait_loadcnt_dscnt 0x1
	s_delay_alu instid0(VALU_DEP_2) | instskip(NEXT) | instid1(VALU_DEP_1)
	v_add_nc_u64_e32 v[102:103], v[28:29], v[2:3]
	v_cmpx_lt_u64_e64 v[102:103], v[100:101]
	s_cbranch_execz .LBB4_437
; %bb.426:                              ;   in Loop: Header=BB4_424 Depth=3
	v_and_b32_e32 v9, 64, v30
	s_mov_b32 s60, 0
	s_mov_b32 s72, 0
                                        ; implicit-def: $sgpr61
                                        ; implicit-def: $sgpr62
                                        ; implicit-def: $sgpr63
	s_delay_alu instid0(VALU_DEP_1)
	v_cmp_eq_u32_e32 vcc_lo, 0, v9
	s_branch .LBB4_430
.LBB4_427:                              ;   in Loop: Header=BB4_430 Depth=4
	s_wait_loadcnt_dscnt 0x0
	v_add_nc_u64_e32 v[102:103], v[28:29], v[2:3]
	s_or_b32 s75, s75, exec_lo
	s_delay_alu instid0(VALU_DEP_1)
	v_cmp_ge_u64_e64 s13, v[102:103], v[100:101]
	s_or_not1_b32 s74, s13, exec_lo
.LBB4_428:                              ;   in Loop: Header=BB4_430 Depth=4
	s_or_b32 exec_lo, exec_lo, s77
	s_delay_alu instid0(SALU_CYCLE_1)
	s_and_not1_b32 s13, s63, exec_lo
	s_and_b32 s63, s75, exec_lo
	s_and_not1_b32 s62, s62, exec_lo
	s_and_b32 s74, s74, exec_lo
	s_or_b32 s63, s13, s63
	s_or_b32 s62, s62, s74
.LBB4_429:                              ;   in Loop: Header=BB4_430 Depth=4
	s_or_b32 exec_lo, exec_lo, s73
	s_delay_alu instid0(SALU_CYCLE_1) | instskip(NEXT) | instid1(SALU_CYCLE_1)
	s_and_b32 s13, exec_lo, s62
	s_or_b32 s60, s13, s60
	s_and_not1_b32 s13, s61, exec_lo
	s_and_b32 s61, s63, exec_lo
	s_delay_alu instid0(SALU_CYCLE_1)
	s_or_b32 s61, s13, s61
	s_and_not1_b32 exec_lo, exec_lo, s60
	s_cbranch_execz .LBB4_434
.LBB4_430:                              ;   Parent Loop BB4_47 Depth=1
                                        ;     Parent Loop BB4_275 Depth=2
                                        ;       Parent Loop BB4_424 Depth=3
                                        ; =>      This Inner Loop Header: Depth=4
	s_sleep 1
	s_wait_loadcnt_dscnt 0x0
	flat_load_b64 v[28:29], v[20:21] scope:SCOPE_SYS
	s_or_b32 s63, s63, exec_lo
	s_or_b32 s62, s62, exec_lo
                                        ; implicit-def: $vgpr9
	s_wait_xcnt 0x0
	s_and_saveexec_b32 s73, vcc_lo
	s_cbranch_execz .LBB4_429
; %bb.431:                              ;   in Loop: Header=BB4_430 Depth=4
	s_cmp_lt_i32 s72, 0x270f
	s_mov_b32 s74, -1
	s_cselect_b32 s76, -1, 0
	s_cmp_gt_i32 s72, 0x270e
	s_cbranch_scc0 .LBB4_433
; %bb.432:                              ;   in Loop: Header=BB4_430 Depth=4
	s_trap 2
	ds_load_b64 v[102:103], v0
	s_and_not1_b32 s72, s76, exec_lo
	s_mov_b32 s75, 0
	s_wait_storecnt 0x0
	s_wait_loadcnt_dscnt 0x0
	flat_load_b32 v9, v[102:103] scope:SCOPE_SYS
	s_wait_loadcnt_dscnt 0x0
	global_inv scope:SCOPE_SYS
	v_cmp_eq_u32_e64 s13, 0, v9
	s_and_b32 s13, s13, exec_lo
	s_delay_alu instid0(SALU_CYCLE_1)
	s_or_b32 s76, s72, s13
	s_mov_b32 s72, 0
	s_and_saveexec_b32 s77, s76
	s_cbranch_execz .LBB4_428
	s_branch .LBB4_427
.LBB4_433:                              ;   in Loop: Header=BB4_430 Depth=4
	s_add_co_i32 s72, s72, 1
	s_mov_b32 s75, -1
                                        ; implicit-def: $vgpr9
	s_and_saveexec_b32 s77, s76
	s_cbranch_execz .LBB4_428
	s_branch .LBB4_427
.LBB4_434:                              ;   in Loop: Header=BB4_424 Depth=3
	s_or_b32 exec_lo, exec_lo, s60
	s_xor_b32 s13, s61, -1
	s_delay_alu instid0(SALU_CYCLE_1) | instskip(NEXT) | instid1(SALU_CYCLE_1)
	s_and_saveexec_b32 s60, s13
	s_xor_b32 s13, exec_lo, s60
	s_cbranch_execz .LBB4_436
; %bb.435:                              ;   in Loop: Header=BB4_424 Depth=3
	v_or_b32_e32 v30, 64, v30
	s_wait_storecnt 0x0
	s_wait_loadcnt_dscnt 0x0
	ds_store_b32 v0, v9
	s_trap 2
.LBB4_436:                              ;   in Loop: Header=BB4_424 Depth=3
	s_or_b32 exec_lo, exec_lo, s13
.LBB4_437:                              ;   in Loop: Header=BB4_424 Depth=3
	s_delay_alu instid0(SALU_CYCLE_1) | instskip(SKIP_3) | instid1(VALU_DEP_1)
	s_or_b32 exec_lo, exec_lo, s41
	v_and_b32_e32 v9, 0x108, v30
	s_mov_b32 s13, exec_lo
	;;#ASMSTART
	s_wakeup
	;;#ASMEND
                                        ; implicit-def: $vgpr102_vgpr103
	v_cmpx_ne_u32_e32 0x108, v9
	s_xor_b32 s13, exec_lo, s13
; %bb.438:                              ;   in Loop: Header=BB4_424 Depth=3
	v_dual_mov_b32 v103, v3 :: v_dual_bitop2_b32 v102, 7, v86 bitop3:0x40
                                        ; implicit-def: $vgpr86_vgpr87
; %bb.439:                              ;   in Loop: Header=BB4_424 Depth=3
	s_and_not1_saveexec_b32 s13, s13
	s_cbranch_execz .LBB4_441
; %bb.440:                              ;   in Loop: Header=BB4_424 Depth=3
	v_dual_ashrrev_i32 v9, 31, v8 :: v_dual_bitop2_b32 v102, 7, v86 bitop3:0x40
	v_mov_b32_e32 v103, v3
	s_delay_alu instid0(VALU_DEP_2) | instskip(NEXT) | instid1(VALU_DEP_3)
	v_mad_nc_u64_u32 v[86:87], v102, 24, v[6:7]
	v_lshlrev_b64_e32 v[112:113], 2, v[8:9]
	flat_store_b64 v[86:87], v[112:113] offset:8
.LBB4_441:                              ;   in Loop: Header=BB4_424 Depth=3
	s_wait_xcnt 0x0
	s_or_b32 exec_lo, exec_lo, s13
	v_and_b32_e32 v9, 0x100, v30
	s_mov_b32 s13, -1
	s_mov_b32 s41, exec_lo
                                        ; implicit-def: $vgpr86_vgpr87
	s_delay_alu instid0(VALU_DEP_1)
	v_cmpx_ne_u32_e32 0, v9
	s_cbranch_execz .LBB4_445
; %bb.442:                              ;   in Loop: Header=BB4_424 Depth=3
	v_mad_nc_u64_u32 v[112:113], v102, 24, v[6:7]
	s_mov_b32 s60, exec_lo
                                        ; implicit-def: $vgpr86_vgpr87
	s_delay_alu instid0(VALU_DEP_1)
	v_mad_u32 v113, v103, 24, v113
	flat_load_b32 v9, v[112:113]
	s_wait_loadcnt_dscnt 0x0
	v_cmp_ne_u32_e32 vcc_lo, 1, v9
	s_wait_xcnt 0x0
	v_cmpx_eq_u32_e32 1, v9
	s_cbranch_execz .LBB4_444
; %bb.443:                              ;   in Loop: Header=BB4_424 Depth=3
	flat_load_b32 v86, v[112:113] offset:4 scope:SCOPE_SYS
	s_wait_loadcnt_dscnt 0x0
	v_ashrrev_i32_e32 v87, 31, v86
	s_delay_alu instid0(VALU_DEP_1)
	v_lshrrev_b64 v[86:87], 2, v[86:87]
.LBB4_444:                              ;   in Loop: Header=BB4_424 Depth=3
	s_wait_xcnt 0x0
	s_or_b32 exec_lo, exec_lo, s60
	s_delay_alu instid0(SALU_CYCLE_1)
	s_or_not1_b32 s13, vcc_lo, exec_lo
.LBB4_445:                              ;   in Loop: Header=BB4_424 Depth=3
	s_or_b32 exec_lo, exec_lo, s41
	s_and_saveexec_b32 s41, s13
; %bb.446:                              ;   in Loop: Header=BB4_424 Depth=3
	v_mul_u64_e32 v[86:87], v[102:103], v[22:23]
; %bb.447:                              ;   in Loop: Header=BB4_424 Depth=3
	s_or_b32 exec_lo, exec_lo, s41
	v_cmp_eq_u32_e32 vcc_lo, 0, v2
	v_and_b32_e32 v9, 0x2000, v30
	s_delay_alu instid0(VALU_DEP_3) | instskip(SKIP_2) | instid1(VALU_DEP_1)
	v_lshl_add_u64 v[86:87], v[86:87], 2, v[24:25]
	s_mov_b32 s13, exec_lo
	v_cndmask_b32_e32 v2, 0xc8, v58, vcc_lo
	v_add_nc_u32_e32 v2, v0, v2
	ds_store_b64 v2, v[86:87] offset:584
	v_cmpx_ne_u32_e32 0, v9
	s_cbranch_execz .LBB4_449
; %bb.448:                              ;   in Loop: Header=BB4_424 Depth=3
	ds_load_b64 v[86:87], v0 offset:872
	s_wait_dscnt 0x0
	v_add_nc_u64_e32 v[86:87], 1, v[86:87]
	ds_store_b64 v0, v[86:87] offset:872
.LBB4_449:                              ;   in Loop: Header=BB4_424 Depth=3
	s_or_b32 exec_lo, exec_lo, s13
	v_mov_b64_e32 v[86:87], v[100:101]
.LBB4_450:                              ;   in Loop: Header=BB4_424 Depth=3
	s_or_b32 exec_lo, exec_lo, s40
	s_xor_b32 s13, s27, -1
	s_delay_alu instid0(SALU_CYCLE_1) | instskip(NEXT) | instid1(SALU_CYCLE_1)
	s_and_b32 s13, exec_lo, s13
	s_or_b32 s18, s13, s18
	s_and_saveexec_b32 s13, s2
	s_cbranch_execz .LBB4_469
; %bb.451:                              ;   in Loop: Header=BB4_424 Depth=3
	s_and_saveexec_b32 s27, s3
	s_delay_alu instid0(SALU_CYCLE_1)
	s_xor_b32 s27, exec_lo, s27
	s_cbranch_execz .LBB4_466
; %bb.452:                              ;   in Loop: Header=BB4_424 Depth=3
	s_and_saveexec_b32 s40, s6
	s_cbranch_execz .LBB4_465
; %bb.453:                              ;   in Loop: Header=BB4_424 Depth=3
	s_mov_b32 s60, exec_lo
	s_mov_b32 s41, exec_lo
	v_mbcnt_lo_u32_b32 v2, s60, 0
	global_wb scope:SCOPE_DEV
	s_wait_storecnt 0x0
	s_wait_loadcnt_dscnt 0x0
	global_inv scope:SCOPE_DEV
	v_cmpx_eq_u32_e32 0, v2
	s_cbranch_execz .LBB4_455
; %bb.454:                              ;   in Loop: Header=BB4_424 Depth=3
	s_bcnt1_i32_b32 s60, s60
	s_delay_alu instid0(SALU_CYCLE_1)
	v_mov_b32_e32 v2, s60
	s_wait_loadcnt 0x0
	ds_add_u64 v0, v[2:3]
	s_trap 2
.LBB4_455:                              ;   in Loop: Header=BB4_424 Depth=3
	s_or_b32 exec_lo, exec_lo, s41
	s_trap 2
	ds_load_b64 v[100:101], v0
	s_wait_dscnt 0x0
	v_add_nc_u64_e32 v[12:13], v[12:13], v[32:33]
	s_mov_b32 s41, exec_lo
	s_delay_alu instid0(VALU_DEP_1)
	v_cmpx_lt_u64_e64 v[100:101], v[12:13]
	s_cbranch_execz .LBB4_464
; %bb.456:                              ;   in Loop: Header=BB4_424 Depth=3
	s_mov_b32 s60, 0
	s_mov_b32 s63, 0
                                        ; implicit-def: $sgpr61
                                        ; implicit-def: $sgpr62
	s_branch .LBB4_458
.LBB4_457:                              ;   in Loop: Header=BB4_458 Depth=4
	s_or_b32 exec_lo, exec_lo, s73
	s_delay_alu instid0(SALU_CYCLE_1) | instskip(NEXT) | instid1(SALU_CYCLE_1)
	s_and_b32 s72, exec_lo, s74
	s_or_b32 s60, s72, s60
	s_and_not1_b32 s61, s61, exec_lo
	s_and_b32 s72, s62, exec_lo
	s_delay_alu instid0(SALU_CYCLE_1)
	s_or_b32 s61, s61, s72
	s_and_not1_b32 exec_lo, exec_lo, s60
	s_cbranch_execz .LBB4_462
.LBB4_458:                              ;   Parent Loop BB4_47 Depth=1
                                        ;     Parent Loop BB4_275 Depth=2
                                        ;       Parent Loop BB4_424 Depth=3
                                        ; =>      This Inner Loop Header: Depth=4
	s_add_co_i32 s63, s63, 1
	s_delay_alu instid0(SALU_CYCLE_1) | instskip(SKIP_1) | instid1(SALU_CYCLE_1)
	s_cmp_lg_u32 s63, 0x2710
	s_cselect_b32 s72, -1, 0
	s_and_b32 vcc_lo, exec_lo, s72
	s_cbranch_vccz .LBB4_460
; %bb.459:                              ;   in Loop: Header=BB4_458 Depth=4
	s_mov_b32 s74, -1
	s_or_b32 s62, s62, exec_lo
	s_and_saveexec_b32 s73, s72
	s_cbranch_execz .LBB4_457
	s_branch .LBB4_461
.LBB4_460:                              ;   in Loop: Header=BB4_458 Depth=4
	s_trap 2
	ds_load_b64 v[100:101], v0
	s_and_not1_b32 s72, s72, exec_lo
	s_mov_b32 s63, 0
	s_wait_loadcnt_dscnt 0x0
	flat_load_b32 v2, v[100:101] scope:SCOPE_SYS
	s_wait_loadcnt_dscnt 0x0
	global_inv scope:SCOPE_SYS
	v_cmp_eq_u32_e32 vcc_lo, 0, v2
	s_and_b32 s73, vcc_lo, exec_lo
	s_delay_alu instid0(SALU_CYCLE_1)
	s_or_b32 s72, s72, s73
	s_mov_b32 s74, -1
	s_or_b32 s62, s62, exec_lo
	s_and_saveexec_b32 s73, s72
	s_cbranch_execz .LBB4_457
.LBB4_461:                              ;   in Loop: Header=BB4_458 Depth=4
	s_sleep 1
	s_trap 2
	ds_load_b64 v[100:101], v0
	s_wait_dscnt 0x0
	s_and_not1_b32 s62, s62, exec_lo
	v_cmp_ge_u64_e32 vcc_lo, v[100:101], v[12:13]
	s_or_not1_b32 s74, vcc_lo, exec_lo
	s_branch .LBB4_457
.LBB4_462:                              ;   in Loop: Header=BB4_424 Depth=3
	s_or_b32 exec_lo, exec_lo, s60
	s_and_saveexec_b32 s60, s61
	s_delay_alu instid0(SALU_CYCLE_1)
	s_xor_b32 s60, exec_lo, s60
	s_cbranch_execz .LBB4_464
; %bb.463:                              ;   in Loop: Header=BB4_424 Depth=3
	ds_store_b32 v0, v57
	s_trap 2
.LBB4_464:                              ;   in Loop: Header=BB4_424 Depth=3
	s_or_b32 exec_lo, exec_lo, s41
	;;#ASMSTART
	s_wakeup
	;;#ASMEND
.LBB4_465:                              ;   in Loop: Header=BB4_424 Depth=3
	s_or_b32 exec_lo, exec_lo, s40
.LBB4_466:                              ;   in Loop: Header=BB4_424 Depth=3
	s_and_not1_saveexec_b32 s27, s27
	s_cbranch_execz .LBB4_468
; %bb.467:                              ;   in Loop: Header=BB4_424 Depth=3
	global_wb scope:SCOPE_DEV
	s_wait_storecnt 0x0
	s_wait_loadcnt_dscnt 0x0
	global_inv scope:SCOPE_DEV
	s_barrier_signal -1
	s_barrier_wait -1
.LBB4_468:                              ;   in Loop: Header=BB4_424 Depth=3
	s_or_b32 exec_lo, exec_lo, s27
.LBB4_469:                              ;   in Loop: Header=BB4_424 Depth=3
	s_delay_alu instid0(SALU_CYCLE_1) | instskip(SKIP_1) | instid1(SALU_CYCLE_1)
	s_or_b32 exec_lo, exec_lo, s13
                                        ; implicit-def: $vgpr2
	s_and_saveexec_b32 s13, s47
	s_xor_b32 s13, exec_lo, s13
	s_cbranch_execz .LBB4_481
; %bb.470:                              ;   in Loop: Header=BB4_424 Depth=3
	s_and_saveexec_b32 s27, s3
	s_delay_alu instid0(SALU_CYCLE_1)
	s_xor_b32 s27, exec_lo, s27
	s_cbranch_execz .LBB4_486
; %bb.471:                              ;   in Loop: Header=BB4_424 Depth=3
	s_and_saveexec_b32 s40, s6
	s_cbranch_execz .LBB4_485
; %bb.472:                              ;   in Loop: Header=BB4_424 Depth=3
	s_mov_b32 s60, exec_lo
	s_mov_b32 s41, exec_lo
	v_mbcnt_lo_u32_b32 v2, s60, 0
	;;#ASMSTART
	s_waitcnt lgkmcnt(0) vmcnt(0)
	;;#ASMEND
	s_delay_alu instid0(VALU_DEP_1)
	v_cmpx_eq_u32_e32 0, v2
	s_cbranch_execz .LBB4_474
; %bb.473:                              ;   in Loop: Header=BB4_424 Depth=3
	s_bcnt1_i32_b32 s60, s60
	s_delay_alu instid0(SALU_CYCLE_1)
	v_mov_b32_e32 v2, s60
	s_wait_storecnt 0x0
	s_wait_loadcnt_dscnt 0x0
	ds_add_u64 v0, v[2:3]
	s_trap 2
.LBB4_474:                              ;   in Loop: Header=BB4_424 Depth=3
	s_or_b32 exec_lo, exec_lo, s41
	s_trap 2
	ds_load_b64 v[100:101], v0
	s_wait_dscnt 0x0
	v_add_nc_u64_e32 v[12:13], v[12:13], v[32:33]
	s_mov_b32 s41, exec_lo
	s_delay_alu instid0(VALU_DEP_1)
	v_cmpx_lt_u64_e64 v[100:101], v[12:13]
	s_cbranch_execz .LBB4_484
; %bb.475:                              ;   in Loop: Header=BB4_424 Depth=3
	s_mov_b32 s60, 0
	s_mov_b32 s63, 0
                                        ; implicit-def: $sgpr61
                                        ; implicit-def: $sgpr62
	s_branch .LBB4_477
.LBB4_476:                              ;   in Loop: Header=BB4_477 Depth=4
	s_or_b32 exec_lo, exec_lo, s73
	s_delay_alu instid0(SALU_CYCLE_1) | instskip(NEXT) | instid1(SALU_CYCLE_1)
	s_and_b32 s72, exec_lo, s74
	s_or_b32 s60, s72, s60
	s_and_not1_b32 s61, s61, exec_lo
	s_and_b32 s72, s62, exec_lo
	s_delay_alu instid0(SALU_CYCLE_1)
	s_or_b32 s61, s61, s72
	s_and_not1_b32 exec_lo, exec_lo, s60
	s_cbranch_execz .LBB4_482
.LBB4_477:                              ;   Parent Loop BB4_47 Depth=1
                                        ;     Parent Loop BB4_275 Depth=2
                                        ;       Parent Loop BB4_424 Depth=3
                                        ; =>      This Inner Loop Header: Depth=4
	s_add_co_i32 s63, s63, 1
	s_delay_alu instid0(SALU_CYCLE_1) | instskip(SKIP_1) | instid1(SALU_CYCLE_1)
	s_cmp_lg_u32 s63, 0x2710
	s_cselect_b32 s72, -1, 0
	s_and_b32 vcc_lo, exec_lo, s72
	s_cbranch_vccz .LBB4_479
; %bb.478:                              ;   in Loop: Header=BB4_477 Depth=4
	s_mov_b32 s74, -1
	s_or_b32 s62, s62, exec_lo
	s_and_saveexec_b32 s73, s72
	s_cbranch_execz .LBB4_476
	s_branch .LBB4_480
.LBB4_479:                              ;   in Loop: Header=BB4_477 Depth=4
	s_trap 2
	ds_load_b64 v[100:101], v0
	s_and_not1_b32 s72, s72, exec_lo
	s_mov_b32 s63, 0
	s_wait_storecnt 0x0
	s_wait_loadcnt_dscnt 0x0
	flat_load_b32 v2, v[100:101] scope:SCOPE_SYS
	s_wait_loadcnt_dscnt 0x0
	global_inv scope:SCOPE_SYS
	v_cmp_eq_u32_e32 vcc_lo, 0, v2
	s_and_b32 s73, vcc_lo, exec_lo
	s_delay_alu instid0(SALU_CYCLE_1)
	s_or_b32 s72, s72, s73
	s_mov_b32 s74, -1
	s_or_b32 s62, s62, exec_lo
	s_and_saveexec_b32 s73, s72
	s_cbranch_execz .LBB4_476
.LBB4_480:                              ;   in Loop: Header=BB4_477 Depth=4
	s_sleep 1
	s_trap 2
	ds_load_b64 v[100:101], v0
	s_wait_dscnt 0x0
	s_and_not1_b32 s62, s62, exec_lo
	v_cmp_ge_u64_e32 vcc_lo, v[100:101], v[12:13]
	s_or_not1_b32 s74, vcc_lo, exec_lo
	s_branch .LBB4_476
.LBB4_481:                              ;   in Loop: Header=BB4_424 Depth=3
	s_and_not1_saveexec_b32 s27, s13
	s_cbranch_execnz .LBB4_489
	s_branch .LBB4_492
.LBB4_482:                              ;   in Loop: Header=BB4_424 Depth=3
	s_or_b32 exec_lo, exec_lo, s60
	s_and_saveexec_b32 s60, s61
	s_delay_alu instid0(SALU_CYCLE_1)
	s_xor_b32 s60, exec_lo, s60
	s_cbranch_execz .LBB4_484
; %bb.483:                              ;   in Loop: Header=BB4_424 Depth=3
	ds_store_b32 v0, v57
	s_trap 2
.LBB4_484:                              ;   in Loop: Header=BB4_424 Depth=3
	s_or_b32 exec_lo, exec_lo, s41
	;;#ASMSTART
	s_wakeup
	;;#ASMEND
.LBB4_485:                              ;   in Loop: Header=BB4_424 Depth=3
	s_or_b32 exec_lo, exec_lo, s40
.LBB4_486:                              ;   in Loop: Header=BB4_424 Depth=3
	s_and_not1_saveexec_b32 s27, s27
	s_cbranch_execz .LBB4_488
; %bb.487:                              ;   in Loop: Header=BB4_424 Depth=3
	;;#ASMSTART
	s_waitcnt lgkmcnt(0) vmcnt(0)
	;;#ASMEND
	s_barrier_signal -1
	s_barrier_wait -1
.LBB4_488:                              ;   in Loop: Header=BB4_424 Depth=3
	s_or_b32 exec_lo, exec_lo, s27
	v_and_b32_e32 v2, 16, v30
	s_and_not1_saveexec_b32 s27, s13
	s_cbranch_execz .LBB4_492
.LBB4_489:                              ;   in Loop: Header=BB4_424 Depth=3
	s_trap 2
	ds_load_b32 v2, v0
	v_cmp_lt_i32_e32 vcc_lo, 0, v8
	s_wait_dscnt 0x0
	v_readfirstlane_b32 s13, v2
	v_and_b32_e32 v2, 16, v30
	s_cmp_eq_u32 s13, 0
	s_delay_alu instid0(VALU_DEP_1) | instskip(SKIP_3) | instid1(SALU_CYCLE_1)
	v_cmp_ne_u32_e64 s13, 0, v2
	s_cselect_b32 s40, -1, 0
	v_and_b32_e32 v2, 16, v30
	s_and_b32 s40, vcc_lo, s40
	s_and_b32 s40, s13, s40
	s_delay_alu instid0(SALU_CYCLE_1)
	s_and_saveexec_b32 s13, s40
	s_cbranch_execz .LBB4_491
; %bb.490:                              ;   in Loop: Header=BB4_424 Depth=3
	v_mov_b32_e32 v2, 1
	global_wb scope:SCOPE_SYS
	s_wait_loadcnt 0x0
	s_wait_storecnt 0x0
	global_inv scope:SCOPE_SYS
.LBB4_491:                              ;   in Loop: Header=BB4_424 Depth=3
	s_or_b32 exec_lo, exec_lo, s13
.LBB4_492:                              ;   in Loop: Header=BB4_424 Depth=3
	s_delay_alu instid0(SALU_CYCLE_1) | instskip(NEXT) | instid1(VALU_DEP_1)
	s_or_b32 exec_lo, exec_lo, s27
	v_cmp_ne_u32_e32 vcc_lo, 0, v2
	s_xor_b32 s13, s4, -1
	s_delay_alu instid0(SALU_CYCLE_1) | instskip(NEXT) | instid1(SALU_CYCLE_1)
	s_and_b32 s27, vcc_lo, s13
	s_and_saveexec_b32 s13, s27
	s_cbranch_execz .LBB4_494
; %bb.493:                              ;   in Loop: Header=BB4_424 Depth=3
	global_wb scope:SCOPE_SYS
	s_wait_storecnt 0x0
	s_wait_loadcnt_dscnt 0x0
	flat_store_b32 v[26:27], v57 scope:SCOPE_SYS
.LBB4_494:                              ;   in Loop: Header=BB4_424 Depth=3
	s_wait_xcnt 0x0
	s_or_b32 exec_lo, exec_lo, s13
	v_and_b32_e32 v2, 48, v30
	s_mov_b32 s13, exec_lo
	s_delay_alu instid0(VALU_DEP_1)
	v_cmpx_ne_u32_e32 0, v2
	s_cbranch_execz .LBB4_423
; %bb.495:                              ;   in Loop: Header=BB4_424 Depth=3
	v_add_nc_u64_e32 v[86:87], 2, v[86:87]
	global_wb scope:SCOPE_SYS
	s_wait_storecnt 0x0
	s_wait_loadcnt_dscnt 0x0
	flat_store_b64 v[20:21], v[86:87] scope:SCOPE_SYS
	s_branch .LBB4_423
.LBB4_496:                              ;   in Loop: Header=BB4_47 Depth=1
	v_mul_u64_e32 v[8:9], s[16:17], v[84:85]
	v_mov_b32_e32 v102, 0
	s_delay_alu instid0(VALU_DEP_2) | instskip(NEXT) | instid1(VALU_DEP_1)
	v_sub_nc_u64_e32 v[10:11], v[96:97], v[8:9]
	v_min_i64 v[10:11], v[84:85], v[10:11]
	s_delay_alu instid0(VALU_DEP_1) | instskip(SKIP_1) | instid1(VALU_DEP_2)
	v_max_i32_e32 v62, 0, v10
	v_cmp_lt_i32_e32 vcc_lo, 0, v10
	v_add_nc_u32_e32 v2, 31, v62
	s_and_b32 s13, s57, vcc_lo
	s_delay_alu instid0(VALU_DEP_1) | instskip(NEXT) | instid1(VALU_DEP_1)
	v_lshrrev_b32_e32 v2, 1, v2
	v_and_b32_e32 v11, 0x3ffffff0, v2
	s_delay_alu instid0(VALU_DEP_1)
	v_dual_mov_b32 v2, 0 :: v_dual_max_i32 v100, s45, v11
	s_and_saveexec_b32 s18, s13
	s_cbranch_execz .LBB4_677
; %bb.497:                              ;   in Loop: Header=BB4_47 Depth=1
	v_add_nc_u64_e32 v[8:9], v[8:9], v[98:99]
	v_mov_b32_e32 v102, 0
	s_mov_b32 s61, 1
	s_mov_b32 s60, -1
	s_mov_b32 s27, 0
	s_delay_alu instid0(VALU_DEP_2)
	v_lshlrev_b64_e32 v[112:113], 2, v[8:9]
	s_branch .LBB4_499
.LBB4_498:                              ;   in Loop: Header=BB4_499 Depth=2
	s_wait_xcnt 0x0
	s_or_b32 exec_lo, exec_lo, s13
	v_dual_add_nc_u32 v102, v100, v102 :: v_dual_mov_b32 v2, s61
	s_xor_b32 s13, s60, -1
	s_mov_b32 s60, 0
	s_mov_b32 s61, 2
	s_delay_alu instid0(VALU_DEP_1) | instskip(SKIP_1) | instid1(SALU_CYCLE_1)
	v_cmp_ge_i32_e32 vcc_lo, v102, v62
	s_or_b32 s13, s13, vcc_lo
	s_and_b32 s13, exec_lo, s13
	s_delay_alu instid0(SALU_CYCLE_1) | instskip(NEXT) | instid1(SALU_CYCLE_1)
	s_or_b32 s27, s13, s27
	s_and_not1_b32 exec_lo, exec_lo, s27
	s_cbranch_execz .LBB4_676
.LBB4_499:                              ;   Parent Loop BB4_47 Depth=1
                                        ; =>  This Loop Header: Depth=2
                                        ;       Child Loop BB4_507 Depth 3
                                        ;       Child Loop BB4_535 Depth 3
	;; [unrolled: 1-line block ×5, first 2 shown]
                                        ;         Child Loop BB4_587 Depth 4
                                        ;       Child Loop BB4_596 Depth 3
                                        ;       Child Loop BB4_601 Depth 3
                                        ;         Child Loop BB4_602 Depth 4
                                        ;       Child Loop BB4_614 Depth 3
                                        ;       Child Loop BB4_619 Depth 3
                                        ;       Child Loop BB4_627 Depth 3
                                        ;       Child Loop BB4_632 Depth 3
                                        ;       Child Loop BB4_642 Depth 3
                                        ;       Child Loop BB4_661 Depth 3
	s_and_saveexec_b32 s13, s0
	s_cbranch_execz .LBB4_501
; %bb.500:                              ;   in Loop: Header=BB4_499 Depth=2
	s_trap 2
	ds_load_b64 v[114:115], v0
	ds_load_2addr_b64 v[8:11], v0 offset1:1
	s_wait_dscnt 0x1
	v_cmp_ne_u64_e32 vcc_lo, 0, v[114:115]
	v_ashrrev_i32_e32 v103, 31, v102
	v_add_nc_u64_e32 v[118:119], v[114:115], v[112:113]
	s_wait_dscnt 0x0
	v_add_nc_u64_e32 v[8:9], v[8:9], v[112:113]
	v_add_nc_u64_e32 v[10:11], v[10:11], v[112:113]
	v_lshlrev_b64_e32 v[116:117], 2, v[102:103]
	s_delay_alu instid0(VALU_DEP_1) | instskip(NEXT) | instid1(VALU_DEP_4)
	v_add_nc_u64_e32 v[118:119], v[118:119], v[116:117]
	v_add_nc_u64_e32 v[8:9], v[8:9], v[116:117]
	s_delay_alu instid0(VALU_DEP_4) | instskip(NEXT) | instid1(VALU_DEP_3)
	v_add_nc_u64_e32 v[10:11], v[10:11], v[116:117]
	v_dual_cndmask_b32 v115, 0, v119 :: v_dual_cndmask_b32 v114, 0, v118
	ds_store_b64 v0, v[8:9]
	ds_store_b64 v0, v[10:11]
	;; [unrolled: 1-line block ×3, first 2 shown]
.LBB4_501:                              ;   in Loop: Header=BB4_499 Depth=2
	s_or_b32 exec_lo, exec_lo, s13
	v_sub_nc_u32_e32 v2, v62, v102
	v_and_b32_e32 v8, 12, v30
	s_mov_b32 s14, exec_lo
	s_delay_alu instid0(VALU_DEP_2) | instskip(NEXT) | instid1(VALU_DEP_2)
	v_min_i32_e32 v100, v100, v2
	v_cmpx_ne_u32_e32 0, v8
	s_cbranch_execz .LBB4_527
; %bb.502:                              ;   in Loop: Header=BB4_499 Depth=2
	v_and_b32_e32 v2, 8, v30
	v_add_nc_u64_e32 v[8:9], 2, v[86:87]
	s_mov_b32 s15, exec_lo
	s_wait_loadcnt_dscnt 0x1
	s_delay_alu instid0(VALU_DEP_2) | instskip(NEXT) | instid1(VALU_DEP_1)
	v_add_nc_u64_e32 v[10:11], v[28:29], v[2:3]
	v_cmpx_lt_u64_e64 v[10:11], v[8:9]
	s_cbranch_execz .LBB4_514
; %bb.503:                              ;   in Loop: Header=BB4_499 Depth=2
	v_and_b32_e32 v10, 64, v30
	s_mov_b32 s40, 0
	s_mov_b32 s72, 0
                                        ; implicit-def: $sgpr41
                                        ; implicit-def: $sgpr62
                                        ; implicit-def: $sgpr63
	s_delay_alu instid0(VALU_DEP_1)
	v_cmp_eq_u32_e32 vcc_lo, 0, v10
	s_branch .LBB4_507
.LBB4_504:                              ;   in Loop: Header=BB4_507 Depth=3
	s_wait_loadcnt_dscnt 0x0
	v_add_nc_u64_e32 v[114:115], v[28:29], v[2:3]
	s_or_b32 s75, s75, exec_lo
	s_delay_alu instid0(VALU_DEP_1)
	v_cmp_ge_u64_e64 s13, v[114:115], v[8:9]
	s_or_not1_b32 s74, s13, exec_lo
.LBB4_505:                              ;   in Loop: Header=BB4_507 Depth=3
	s_or_b32 exec_lo, exec_lo, s77
	s_delay_alu instid0(SALU_CYCLE_1)
	s_and_not1_b32 s13, s63, exec_lo
	s_and_b32 s63, s75, exec_lo
	s_and_not1_b32 s62, s62, exec_lo
	s_and_b32 s74, s74, exec_lo
	s_or_b32 s63, s13, s63
	s_or_b32 s62, s62, s74
.LBB4_506:                              ;   in Loop: Header=BB4_507 Depth=3
	s_or_b32 exec_lo, exec_lo, s73
	s_delay_alu instid0(SALU_CYCLE_1) | instskip(NEXT) | instid1(SALU_CYCLE_1)
	s_and_b32 s13, exec_lo, s62
	s_or_b32 s40, s13, s40
	s_and_not1_b32 s13, s41, exec_lo
	s_and_b32 s41, s63, exec_lo
	s_delay_alu instid0(SALU_CYCLE_1)
	s_or_b32 s41, s13, s41
	s_and_not1_b32 exec_lo, exec_lo, s40
	s_cbranch_execz .LBB4_511
.LBB4_507:                              ;   Parent Loop BB4_47 Depth=1
                                        ;     Parent Loop BB4_499 Depth=2
                                        ; =>    This Inner Loop Header: Depth=3
	s_sleep 1
	s_wait_loadcnt_dscnt 0x0
	flat_load_b64 v[28:29], v[20:21] scope:SCOPE_SYS
	s_or_b32 s63, s63, exec_lo
	s_or_b32 s62, s62, exec_lo
                                        ; implicit-def: $vgpr10
	s_wait_xcnt 0x0
	s_and_saveexec_b32 s73, vcc_lo
	s_cbranch_execz .LBB4_506
; %bb.508:                              ;   in Loop: Header=BB4_507 Depth=3
	s_cmp_lt_i32 s72, 0x270f
	s_mov_b32 s74, -1
	s_cselect_b32 s76, -1, 0
	s_cmp_gt_i32 s72, 0x270e
	s_cbranch_scc0 .LBB4_510
; %bb.509:                              ;   in Loop: Header=BB4_507 Depth=3
	s_trap 2
	ds_load_b64 v[10:11], v0
	s_and_not1_b32 s72, s76, exec_lo
	s_mov_b32 s75, 0
	s_wait_storecnt 0x0
	s_wait_loadcnt_dscnt 0x0
	flat_load_b32 v10, v[10:11] scope:SCOPE_SYS
	s_wait_loadcnt_dscnt 0x0
	global_inv scope:SCOPE_SYS
	v_cmp_eq_u32_e64 s13, 0, v10
	s_and_b32 s13, s13, exec_lo
	s_delay_alu instid0(SALU_CYCLE_1)
	s_or_b32 s76, s72, s13
	s_mov_b32 s72, 0
	s_and_saveexec_b32 s77, s76
	s_cbranch_execz .LBB4_505
	s_branch .LBB4_504
.LBB4_510:                              ;   in Loop: Header=BB4_507 Depth=3
	s_add_co_i32 s72, s72, 1
	s_mov_b32 s75, -1
                                        ; implicit-def: $vgpr10
	s_and_saveexec_b32 s77, s76
	s_cbranch_execz .LBB4_505
	s_branch .LBB4_504
.LBB4_511:                              ;   in Loop: Header=BB4_499 Depth=2
	s_or_b32 exec_lo, exec_lo, s40
	s_xor_b32 s13, s41, -1
	s_delay_alu instid0(SALU_CYCLE_1) | instskip(NEXT) | instid1(SALU_CYCLE_1)
	s_and_saveexec_b32 s40, s13
	s_xor_b32 s13, exec_lo, s40
	s_cbranch_execz .LBB4_513
; %bb.512:                              ;   in Loop: Header=BB4_499 Depth=2
	v_or_b32_e32 v30, 64, v30
	s_wait_storecnt 0x0
	s_wait_loadcnt_dscnt 0x0
	ds_store_b32 v0, v10
	s_trap 2
.LBB4_513:                              ;   in Loop: Header=BB4_499 Depth=2
	s_or_b32 exec_lo, exec_lo, s13
.LBB4_514:                              ;   in Loop: Header=BB4_499 Depth=2
	s_delay_alu instid0(SALU_CYCLE_1) | instskip(SKIP_2) | instid1(VALU_DEP_1)
	s_or_b32 exec_lo, exec_lo, s15
	v_and_b32_e32 v10, 0x108, v30
	;;#ASMSTART
	s_wakeup
	;;#ASMEND
	v_cmp_ne_u32_e32 vcc_lo, 0x108, v10
                                        ; implicit-def: $vgpr10_vgpr11
	s_and_saveexec_b32 s13, vcc_lo
	s_delay_alu instid0(SALU_CYCLE_1)
	s_xor_b32 s13, exec_lo, s13
; %bb.515:                              ;   in Loop: Header=BB4_499 Depth=2
	v_dual_mov_b32 v11, v3 :: v_dual_bitop2_b32 v10, 7, v86 bitop3:0x40
                                        ; implicit-def: $vgpr86_vgpr87
; %bb.516:                              ;   in Loop: Header=BB4_499 Depth=2
	s_and_not1_saveexec_b32 s13, s13
	s_cbranch_execz .LBB4_518
; %bb.517:                              ;   in Loop: Header=BB4_499 Depth=2
	v_dual_ashrrev_i32 v101, 31, v100 :: v_dual_bitop2_b32 v10, 7, v86 bitop3:0x40
	v_mov_b32_e32 v11, v3
	s_delay_alu instid0(VALU_DEP_2) | instskip(NEXT) | instid1(VALU_DEP_3)
	v_mad_nc_u64_u32 v[86:87], v10, 24, v[6:7]
	v_lshlrev_b64_e32 v[114:115], 2, v[100:101]
	flat_store_b64 v[86:87], v[114:115] offset:8
.LBB4_518:                              ;   in Loop: Header=BB4_499 Depth=2
	s_wait_xcnt 0x0
	s_or_b32 exec_lo, exec_lo, s13
	v_and_b32_e32 v86, 0x100, v30
	s_mov_b32 s13, -1
	s_delay_alu instid0(VALU_DEP_1)
	v_cmp_ne_u32_e32 vcc_lo, 0, v86
                                        ; implicit-def: $vgpr86_vgpr87
	s_and_saveexec_b32 s15, vcc_lo
	s_cbranch_execz .LBB4_522
; %bb.519:                              ;   in Loop: Header=BB4_499 Depth=2
	v_mad_nc_u64_u32 v[114:115], v10, 24, v[6:7]
	s_delay_alu instid0(VALU_DEP_1)
	v_mad_u32 v115, v11, 24, v115
	flat_load_b32 v86, v[114:115]
	s_wait_loadcnt_dscnt 0x0
	v_cmp_eq_u32_e64 s13, 1, v86
	v_cmp_ne_u32_e32 vcc_lo, 1, v86
                                        ; implicit-def: $vgpr86_vgpr87
	s_wait_xcnt 0x0
	s_and_saveexec_b32 s40, s13
	s_cbranch_execz .LBB4_521
; %bb.520:                              ;   in Loop: Header=BB4_499 Depth=2
	flat_load_b32 v86, v[114:115] offset:4 scope:SCOPE_SYS
	s_wait_loadcnt_dscnt 0x0
	v_ashrrev_i32_e32 v87, 31, v86
	s_delay_alu instid0(VALU_DEP_1)
	v_lshrrev_b64 v[86:87], 2, v[86:87]
.LBB4_521:                              ;   in Loop: Header=BB4_499 Depth=2
	s_wait_xcnt 0x0
	s_or_b32 exec_lo, exec_lo, s40
	s_delay_alu instid0(SALU_CYCLE_1)
	s_or_not1_b32 s13, vcc_lo, exec_lo
.LBB4_522:                              ;   in Loop: Header=BB4_499 Depth=2
	s_or_b32 exec_lo, exec_lo, s15
	s_and_saveexec_b32 s15, s13
; %bb.523:                              ;   in Loop: Header=BB4_499 Depth=2
	v_mul_u64_e32 v[86:87], v[10:11], v[22:23]
; %bb.524:                              ;   in Loop: Header=BB4_499 Depth=2
	s_or_b32 exec_lo, exec_lo, s15
	v_cmp_eq_u32_e32 vcc_lo, 0, v2
	v_and_b32_e32 v101, 0x2000, v30
	s_delay_alu instid0(VALU_DEP_3) | instskip(SKIP_2) | instid1(VALU_DEP_1)
	v_lshl_add_u64 v[10:11], v[86:87], 2, v[24:25]
	s_mov_b32 s13, exec_lo
	v_cndmask_b32_e32 v2, 0xd0, v58, vcc_lo
	v_add_nc_u32_e32 v2, v0, v2
	ds_store_b64 v2, v[10:11] offset:584
	v_cmpx_ne_u32_e32 0, v101
	s_cbranch_execz .LBB4_526
; %bb.525:                              ;   in Loop: Header=BB4_499 Depth=2
	ds_load_b64 v[10:11], v0 offset:872
	s_wait_dscnt 0x0
	v_add_nc_u64_e32 v[10:11], 1, v[10:11]
	ds_store_b64 v0, v[10:11] offset:872
.LBB4_526:                              ;   in Loop: Header=BB4_499 Depth=2
	s_or_b32 exec_lo, exec_lo, s13
	v_mov_b64_e32 v[86:87], v[8:9]
.LBB4_527:                              ;   in Loop: Header=BB4_499 Depth=2
	s_or_b32 exec_lo, exec_lo, s14
	s_and_saveexec_b32 s13, s2
	s_cbranch_execz .LBB4_546
; %bb.528:                              ;   in Loop: Header=BB4_499 Depth=2
	s_and_saveexec_b32 s14, s3
	s_delay_alu instid0(SALU_CYCLE_1)
	s_xor_b32 s14, exec_lo, s14
	s_cbranch_execz .LBB4_543
; %bb.529:                              ;   in Loop: Header=BB4_499 Depth=2
	s_and_saveexec_b32 s15, s6
	s_cbranch_execz .LBB4_542
; %bb.530:                              ;   in Loop: Header=BB4_499 Depth=2
	s_mov_b32 s41, exec_lo
	s_mov_b32 s40, exec_lo
	v_mbcnt_lo_u32_b32 v2, s41, 0
	global_wb scope:SCOPE_DEV
	s_wait_storecnt 0x0
	s_wait_loadcnt_dscnt 0x0
	global_inv scope:SCOPE_DEV
	v_cmpx_eq_u32_e32 0, v2
	s_cbranch_execz .LBB4_532
; %bb.531:                              ;   in Loop: Header=BB4_499 Depth=2
	s_bcnt1_i32_b32 s41, s41
	s_delay_alu instid0(SALU_CYCLE_1)
	v_mov_b32_e32 v2, s41
	s_wait_loadcnt 0x0
	ds_add_u64 v0, v[2:3]
	s_trap 2
.LBB4_532:                              ;   in Loop: Header=BB4_499 Depth=2
	s_or_b32 exec_lo, exec_lo, s40
	s_trap 2
	ds_load_b64 v[8:9], v0
	s_wait_dscnt 0x0
	v_add_nc_u64_e32 v[12:13], v[12:13], v[32:33]
	s_mov_b32 s40, exec_lo
	s_delay_alu instid0(VALU_DEP_1)
	v_cmpx_lt_u64_e64 v[8:9], v[12:13]
	s_cbranch_execz .LBB4_541
; %bb.533:                              ;   in Loop: Header=BB4_499 Depth=2
	s_mov_b32 s41, 0
	s_mov_b32 s72, 0
                                        ; implicit-def: $sgpr62
                                        ; implicit-def: $sgpr63
	s_branch .LBB4_535
.LBB4_534:                              ;   in Loop: Header=BB4_535 Depth=3
	s_or_b32 exec_lo, exec_lo, s74
	s_delay_alu instid0(SALU_CYCLE_1) | instskip(NEXT) | instid1(SALU_CYCLE_1)
	s_and_b32 s73, exec_lo, s75
	s_or_b32 s41, s73, s41
	s_and_not1_b32 s62, s62, exec_lo
	s_and_b32 s73, s63, exec_lo
	s_delay_alu instid0(SALU_CYCLE_1)
	s_or_b32 s62, s62, s73
	s_and_not1_b32 exec_lo, exec_lo, s41
	s_cbranch_execz .LBB4_539
.LBB4_535:                              ;   Parent Loop BB4_47 Depth=1
                                        ;     Parent Loop BB4_499 Depth=2
                                        ; =>    This Inner Loop Header: Depth=3
	s_add_co_i32 s72, s72, 1
	s_delay_alu instid0(SALU_CYCLE_1) | instskip(SKIP_1) | instid1(SALU_CYCLE_1)
	s_cmp_lg_u32 s72, 0x2710
	s_cselect_b32 s73, -1, 0
	s_and_b32 vcc_lo, exec_lo, s73
	s_cbranch_vccz .LBB4_537
; %bb.536:                              ;   in Loop: Header=BB4_535 Depth=3
	s_mov_b32 s75, -1
	s_or_b32 s63, s63, exec_lo
	s_and_saveexec_b32 s74, s73
	s_cbranch_execz .LBB4_534
	s_branch .LBB4_538
.LBB4_537:                              ;   in Loop: Header=BB4_535 Depth=3
	s_trap 2
	ds_load_b64 v[8:9], v0
	s_and_not1_b32 s73, s73, exec_lo
	s_mov_b32 s72, 0
	s_wait_loadcnt_dscnt 0x0
	flat_load_b32 v2, v[8:9] scope:SCOPE_SYS
	s_wait_loadcnt_dscnt 0x0
	global_inv scope:SCOPE_SYS
	v_cmp_eq_u32_e32 vcc_lo, 0, v2
	s_and_b32 s74, vcc_lo, exec_lo
	s_delay_alu instid0(SALU_CYCLE_1)
	s_or_b32 s73, s73, s74
	s_mov_b32 s75, -1
	s_or_b32 s63, s63, exec_lo
	s_and_saveexec_b32 s74, s73
	s_cbranch_execz .LBB4_534
.LBB4_538:                              ;   in Loop: Header=BB4_535 Depth=3
	s_sleep 1
	s_trap 2
	ds_load_b64 v[8:9], v0
	s_wait_dscnt 0x0
	s_and_not1_b32 s63, s63, exec_lo
	v_cmp_ge_u64_e32 vcc_lo, v[8:9], v[12:13]
	s_or_not1_b32 s75, vcc_lo, exec_lo
	s_branch .LBB4_534
.LBB4_539:                              ;   in Loop: Header=BB4_499 Depth=2
	s_or_b32 exec_lo, exec_lo, s41
	s_and_saveexec_b32 s41, s62
	s_delay_alu instid0(SALU_CYCLE_1)
	s_xor_b32 s41, exec_lo, s41
	s_cbranch_execz .LBB4_541
; %bb.540:                              ;   in Loop: Header=BB4_499 Depth=2
	ds_store_b32 v0, v57
	s_trap 2
.LBB4_541:                              ;   in Loop: Header=BB4_499 Depth=2
	s_or_b32 exec_lo, exec_lo, s40
	;;#ASMSTART
	s_wakeup
	;;#ASMEND
.LBB4_542:                              ;   in Loop: Header=BB4_499 Depth=2
	s_or_b32 exec_lo, exec_lo, s15
.LBB4_543:                              ;   in Loop: Header=BB4_499 Depth=2
	s_and_not1_saveexec_b32 s14, s14
	s_cbranch_execz .LBB4_545
; %bb.544:                              ;   in Loop: Header=BB4_499 Depth=2
	global_wb scope:SCOPE_DEV
	s_wait_storecnt 0x0
	s_wait_loadcnt_dscnt 0x0
	global_inv scope:SCOPE_DEV
	s_barrier_signal -1
	s_barrier_wait -1
.LBB4_545:                              ;   in Loop: Header=BB4_499 Depth=2
	s_or_b32 exec_lo, exec_lo, s14
.LBB4_546:                              ;   in Loop: Header=BB4_499 Depth=2
	s_delay_alu instid0(SALU_CYCLE_1) | instskip(SKIP_4) | instid1(VALU_DEP_1)
	s_or_b32 exec_lo, exec_lo, s13
	s_trap 2
	ds_load_b32 v8, v0
	v_and_b32_e32 v2, 0x4000, v30
	s_xor_b32 s13, s1, -1
	v_cmp_ne_u32_e32 vcc_lo, 0, v2
	s_and_b32 s14, s13, vcc_lo
	s_delay_alu instid0(SALU_CYCLE_1)
	s_and_saveexec_b32 s13, s14
	s_cbranch_execz .LBB4_565
; %bb.547:                              ;   in Loop: Header=BB4_499 Depth=2
	s_and_saveexec_b32 s14, s3
	s_delay_alu instid0(SALU_CYCLE_1)
	s_xor_b32 s14, exec_lo, s14
	s_cbranch_execz .LBB4_562
; %bb.548:                              ;   in Loop: Header=BB4_499 Depth=2
	s_and_saveexec_b32 s15, s6
	s_cbranch_execz .LBB4_561
; %bb.549:                              ;   in Loop: Header=BB4_499 Depth=2
	s_mov_b32 s41, exec_lo
	s_mov_b32 s40, exec_lo
	v_mbcnt_lo_u32_b32 v2, s41, 0
	global_wb scope:SCOPE_DEV
	s_wait_storecnt 0x0
	s_wait_loadcnt_dscnt 0x0
	global_inv scope:SCOPE_DEV
	v_cmpx_eq_u32_e32 0, v2
	s_cbranch_execz .LBB4_551
; %bb.550:                              ;   in Loop: Header=BB4_499 Depth=2
	s_bcnt1_i32_b32 s41, s41
	s_delay_alu instid0(SALU_CYCLE_1)
	v_mov_b32_e32 v2, s41
	s_wait_loadcnt 0x0
	ds_add_u64 v0, v[2:3]
	s_trap 2
.LBB4_551:                              ;   in Loop: Header=BB4_499 Depth=2
	s_or_b32 exec_lo, exec_lo, s40
	s_trap 2
	ds_load_b64 v[10:11], v0
	s_wait_dscnt 0x0
	v_add_nc_u64_e32 v[12:13], v[12:13], v[32:33]
	s_mov_b32 s40, exec_lo
	s_delay_alu instid0(VALU_DEP_1)
	v_cmpx_lt_u64_e64 v[10:11], v[12:13]
	s_cbranch_execz .LBB4_560
; %bb.552:                              ;   in Loop: Header=BB4_499 Depth=2
	s_mov_b32 s41, 0
	s_mov_b32 s72, 0
                                        ; implicit-def: $sgpr62
                                        ; implicit-def: $sgpr63
	s_branch .LBB4_554
.LBB4_553:                              ;   in Loop: Header=BB4_554 Depth=3
	s_or_b32 exec_lo, exec_lo, s74
	s_delay_alu instid0(SALU_CYCLE_1) | instskip(NEXT) | instid1(SALU_CYCLE_1)
	s_and_b32 s73, exec_lo, s75
	s_or_b32 s41, s73, s41
	s_and_not1_b32 s62, s62, exec_lo
	s_and_b32 s73, s63, exec_lo
	s_delay_alu instid0(SALU_CYCLE_1)
	s_or_b32 s62, s62, s73
	s_and_not1_b32 exec_lo, exec_lo, s41
	s_cbranch_execz .LBB4_558
.LBB4_554:                              ;   Parent Loop BB4_47 Depth=1
                                        ;     Parent Loop BB4_499 Depth=2
                                        ; =>    This Inner Loop Header: Depth=3
	s_add_co_i32 s72, s72, 1
	s_delay_alu instid0(SALU_CYCLE_1) | instskip(SKIP_1) | instid1(SALU_CYCLE_1)
	s_cmp_lg_u32 s72, 0x2710
	s_cselect_b32 s73, -1, 0
	s_and_b32 vcc_lo, exec_lo, s73
	s_cbranch_vccz .LBB4_556
; %bb.555:                              ;   in Loop: Header=BB4_554 Depth=3
	s_mov_b32 s75, -1
	s_or_b32 s63, s63, exec_lo
	s_and_saveexec_b32 s74, s73
	s_cbranch_execz .LBB4_553
	s_branch .LBB4_557
.LBB4_556:                              ;   in Loop: Header=BB4_554 Depth=3
	s_trap 2
	ds_load_b64 v[10:11], v0
	s_and_not1_b32 s73, s73, exec_lo
	s_mov_b32 s72, 0
	s_wait_loadcnt_dscnt 0x0
	flat_load_b32 v2, v[10:11] scope:SCOPE_SYS
	s_wait_loadcnt_dscnt 0x0
	global_inv scope:SCOPE_SYS
	v_cmp_eq_u32_e32 vcc_lo, 0, v2
	s_and_b32 s74, vcc_lo, exec_lo
	s_delay_alu instid0(SALU_CYCLE_1)
	s_or_b32 s73, s73, s74
	s_mov_b32 s75, -1
	s_or_b32 s63, s63, exec_lo
	s_and_saveexec_b32 s74, s73
	s_cbranch_execz .LBB4_553
.LBB4_557:                              ;   in Loop: Header=BB4_554 Depth=3
	s_sleep 1
	s_trap 2
	ds_load_b64 v[10:11], v0
	s_wait_dscnt 0x0
	s_and_not1_b32 s63, s63, exec_lo
	v_cmp_ge_u64_e32 vcc_lo, v[10:11], v[12:13]
	s_or_not1_b32 s75, vcc_lo, exec_lo
	s_branch .LBB4_553
.LBB4_558:                              ;   in Loop: Header=BB4_499 Depth=2
	s_or_b32 exec_lo, exec_lo, s41
	s_and_saveexec_b32 s41, s62
	s_delay_alu instid0(SALU_CYCLE_1)
	s_xor_b32 s41, exec_lo, s41
	s_cbranch_execz .LBB4_560
; %bb.559:                              ;   in Loop: Header=BB4_499 Depth=2
	ds_store_b32 v0, v57
	s_trap 2
.LBB4_560:                              ;   in Loop: Header=BB4_499 Depth=2
	s_or_b32 exec_lo, exec_lo, s40
	;;#ASMSTART
	s_wakeup
	;;#ASMEND
.LBB4_561:                              ;   in Loop: Header=BB4_499 Depth=2
	s_or_b32 exec_lo, exec_lo, s15
.LBB4_562:                              ;   in Loop: Header=BB4_499 Depth=2
	s_and_not1_saveexec_b32 s14, s14
	s_cbranch_execz .LBB4_564
; %bb.563:                              ;   in Loop: Header=BB4_499 Depth=2
	global_wb scope:SCOPE_DEV
	s_wait_storecnt 0x0
	s_wait_loadcnt_dscnt 0x0
	global_inv scope:SCOPE_DEV
	s_barrier_signal -1
	s_barrier_wait -1
.LBB4_564:                              ;   in Loop: Header=BB4_499 Depth=2
	s_or_b32 exec_lo, exec_lo, s14
.LBB4_565:                              ;   in Loop: Header=BB4_499 Depth=2
	s_delay_alu instid0(SALU_CYCLE_1)
	s_or_b32 exec_lo, exec_lo, s13
	s_trap 2
	ds_load_b64 v[114:115], v0
	s_wait_dscnt 0x0
	v_cmp_eq_u64_e32 vcc_lo, 0, v[114:115]
	s_cbranch_vccnz .LBB4_574
; %bb.566:                              ;   in Loop: Header=BB4_499 Depth=2
	s_trap 2
	ds_load_b64 v[116:117], v0
	s_wait_dscnt 0x0
	v_cmp_eq_u64_e32 vcc_lo, 0, v[116:117]
	s_cbranch_vccnz .LBB4_574
; %bb.567:                              ;   in Loop: Header=BB4_499 Depth=2
	s_trap 2
	ds_load_b64 v[118:119], v0
	v_cmp_eq_u32_e32 vcc_lo, 0, v8
	s_mov_b32 s13, -1
	v_cndmask_b32_e32 v2, 0, v100, vcc_lo
	s_delay_alu instid0(VALU_DEP_1)
	v_lshlrev_b32_e32 v101, 2, v2
	s_wait_dscnt 0x0
	v_cmp_ne_u64_e32 vcc_lo, 0, v[118:119]
	s_cbranch_vccz .LBB4_605
; %bb.568:                              ;   in Loop: Header=BB4_499 Depth=2
	s_and_saveexec_b32 s14, s12
	s_cbranch_execz .LBB4_570
; %bb.569:                              ;   in Loop: Header=BB4_499 Depth=2
	ds_load_b32 v8, v0 offset:720
	s_wait_dscnt 0x0
	v_and_b32_e32 v8, 15, v8
	s_delay_alu instid0(VALU_DEP_1)
	v_cmp_eq_u32_e32 vcc_lo, 0, v8
	s_or_not1_b32 s13, vcc_lo, exec_lo
.LBB4_570:                              ;   in Loop: Header=BB4_499 Depth=2
	s_or_b32 exec_lo, exec_lo, s14
	s_and_saveexec_b32 s14, s12
	s_cbranch_execz .LBB4_572
; %bb.571:                              ;   in Loop: Header=BB4_499 Depth=2
	ds_load_b32 v8, v0 offset:784
	s_wait_dscnt 0x0
	v_and_b32_e32 v8, 15, v8
	s_delay_alu instid0(VALU_DEP_1) | instskip(SKIP_3) | instid1(SALU_CYCLE_1)
	v_cmp_eq_u32_e32 vcc_lo, 0, v8
	s_and_b32 s15, s13, vcc_lo
	s_and_not1_b32 s13, s13, exec_lo
	s_and_b32 s15, s15, exec_lo
	s_or_b32 s13, s13, s15
.LBB4_572:                              ;   in Loop: Header=BB4_499 Depth=2
	s_or_b32 exec_lo, exec_lo, s14
	s_xor_b32 s13, s13, -1
	v_dual_mov_b32 v103, 0 :: v_dual_mov_b32 v44, v101
	v_cndmask_b32_e64 v8, 0, 1, s13
	v_mov_b32_e32 v45, v0
	s_mov_b32 s13, -1
	s_delay_alu instid0(VALU_DEP_2)
	v_cmp_ne_u32_e32 vcc_lo, 0, v8
	v_mov_b32_e32 v8, v60
	s_cbranch_vccz .LBB4_579
; %bb.573:                              ;   in Loop: Header=BB4_499 Depth=2
	s_and_saveexec_b32 s15, s13
	s_cbranch_execnz .LBB4_594
	s_branch .LBB4_604
.LBB4_574:                              ;   in Loop: Header=BB4_499 Depth=2
	s_mov_b32 s13, 0
	s_and_saveexec_b32 s14, s2
	s_cbranch_execnz .LBB4_635
.LBB4_575:                              ;   in Loop: Header=BB4_499 Depth=2
	s_or_b32 exec_lo, exec_lo, s14
                                        ; implicit-def: $vgpr2
	s_and_saveexec_b32 s14, s10
	s_delay_alu instid0(SALU_CYCLE_1)
	s_xor_b32 s14, exec_lo, s14
	s_cbranch_execz .LBB4_653
.LBB4_576:                              ;   in Loop: Header=BB4_499 Depth=2
	v_and_b32_e32 v2, 16, v30
	s_delay_alu instid0(VALU_DEP_1) | instskip(SKIP_2) | instid1(SALU_CYCLE_1)
	v_cmp_ne_u32_e32 vcc_lo, 0, v2
	v_and_b32_e32 v2, 16, v30
	s_and_b32 s15, vcc_lo, s13
	s_and_saveexec_b32 s13, s15
	s_cbranch_execz .LBB4_578
; %bb.577:                              ;   in Loop: Header=BB4_499 Depth=2
	v_mov_b32_e32 v2, 1
	global_wb scope:SCOPE_SYS
	s_wait_storecnt 0x0
	s_wait_loadcnt_dscnt 0x0
	global_inv scope:SCOPE_SYS
.LBB4_578:                              ;   in Loop: Header=BB4_499 Depth=2
	s_or_b32 exec_lo, exec_lo, s13
	s_and_not1_saveexec_b32 s13, s14
	s_cbranch_execz .LBB4_672
	s_branch .LBB4_654
.LBB4_579:                              ;   in Loop: Header=BB4_499 Depth=2
	v_ashrrev_i32_e32 v8, 31, v101
	s_mov_b32 s13, exec_lo
	s_delay_alu instid0(VALU_DEP_1) | instskip(NEXT) | instid1(VALU_DEP_1)
	v_lshrrev_b32_e32 v8, 22, v8
	v_add_nc_u32_e32 v8, v101, v8
	s_delay_alu instid0(VALU_DEP_1) | instskip(NEXT) | instid1(VALU_DEP_1)
	v_ashrrev_i32_e32 v103, 10, v8
	v_sub_nc_u32_e32 v46, v103, v60
	s_delay_alu instid0(VALU_DEP_1)
	v_cmpx_lt_i32_e32 0, v46
	s_cbranch_execz .LBB4_583
; %bb.580:                              ;   in Loop: Header=BB4_499 Depth=2
	s_trap 2
	ds_load_b64 v[42:43], v0
	v_add_nc_u64_e32 v[8:9], v[116:117], v[82:83]
	v_add_nc_u64_e32 v[10:11], v[118:119], v[82:83]
	;; [unrolled: 1-line block ×3, first 2 shown]
	s_mov_b32 s14, 0
	s_wait_dscnt 0x0
	v_add_nc_u64_e32 v[42:43], v[42:43], v[82:83]
.LBB4_581:                              ;   Parent Loop BB4_47 Depth=1
                                        ;     Parent Loop BB4_499 Depth=2
                                        ; =>    This Inner Loop Header: Depth=3
	global_load_b128 v[72:75], v[42:43], off th:TH_LOAD_NT
	s_clause 0x1
	global_load_b128 v[76:79], v[40:41], off th:TH_LOAD_NT
	global_load_b128 v[88:91], v[40:41], off offset:512 th:TH_LOAD_NT
	global_load_b128 v[92:95], v[42:43], off offset:512 th:TH_LOAD_NT
	v_sub_nc_u32_e32 v46, v46, v32
	s_wait_xcnt 0x1
	v_add_nc_u64_e32 v[40:41], v[40:41], v[54:55]
	s_wait_xcnt 0x0
	v_add_nc_u64_e32 v[42:43], v[42:43], v[54:55]
	s_wait_loadcnt 0x2
	v_dual_mul_f32 v72, v76, v72 :: v_dual_mul_f32 v74, v78, v74
	v_dual_mul_f32 v73, v77, v73 :: v_dual_mul_f32 v75, v79, v75
	s_wait_loadcnt 0x0
	v_dual_mul_f32 v76, v88, v92 :: v_dual_mul_f32 v77, v89, v93
	v_dual_mul_f32 v78, v90, v94 :: v_dual_mul_f32 v79, v91, v95
	v_cmp_gt_i32_e32 vcc_lo, 1, v46
	s_clause 0x1
	global_store_b128 v[8:9], v[72:75], off th:TH_STORE_NT
	global_store_b128 v[8:9], v[76:79], off offset:512 th:TH_STORE_NT
	s_clause 0x1
	global_store_b128 v[10:11], v[72:75], off th:TH_STORE_NT
	global_store_b128 v[10:11], v[76:79], off offset:512 th:TH_STORE_NT
	s_wait_xcnt 0x2
	v_add_nc_u64_e32 v[8:9], v[8:9], v[54:55]
	s_wait_xcnt 0x0
	v_add_nc_u64_e32 v[10:11], v[10:11], v[54:55]
	s_or_b32 s14, vcc_lo, s14
	s_delay_alu instid0(SALU_CYCLE_1)
	s_and_not1_b32 exec_lo, exec_lo, s14
	s_cbranch_execnz .LBB4_581
; %bb.582:                              ;   in Loop: Header=BB4_499 Depth=2
	s_or_b32 exec_lo, exec_lo, s14
.LBB4_583:                              ;   in Loop: Header=BB4_499 Depth=2
	s_delay_alu instid0(SALU_CYCLE_1) | instskip(SKIP_3) | instid1(VALU_DEP_1)
	s_or_b32 exec_lo, exec_lo, s13
	v_dual_lshlrev_b32 v63, 10, v103 :: v_dual_mov_b32 v103, 0
	s_mov_b32 s13, 0
	s_mov_b32 s62, exec_lo
                                        ; implicit-def: $vgpr44
                                        ; implicit-def: $vgpr45
                                        ; implicit-def: $vgpr8
	v_cmpx_ne_u32_e64 v101, v63
	s_cbranch_execz .LBB4_593
; %bb.584:                              ;   in Loop: Header=BB4_499 Depth=2
	v_dual_lshlrev_b32 v8, 5, v46 :: v_dual_sub_nc_u32 v10, v101, v63
	s_mov_b32 s63, exec_lo
	s_delay_alu instid0(VALU_DEP_1) | instskip(NEXT) | instid1(VALU_DEP_1)
	v_dual_sub_nc_u32 v8, v61, v8 :: v_dual_ashrrev_i32 v11, 31, v10
	v_dual_ashrrev_i32 v9, 31, v8 :: v_dual_lshrrev_b32 v11, 23, v11
	s_delay_alu instid0(VALU_DEP_1) | instskip(NEXT) | instid1(VALU_DEP_1)
	v_lshrrev_b32_e32 v9, 27, v9
	v_dual_add_nc_u32 v9, v8, v9 :: v_dual_add_nc_u32 v11, v10, v11
	s_delay_alu instid0(VALU_DEP_1) | instskip(SKIP_1) | instid1(VALU_DEP_3)
	v_and_b32_e32 v103, 0xffffffe0, v9
	v_ashrrev_i32_e32 v9, 5, v9
	v_and_b32_e32 v72, 0xfffffe00, v11
	v_ashrrev_i32_e32 v11, 9, v11
	s_delay_alu instid0(VALU_DEP_2) | instskip(NEXT) | instid1(VALU_DEP_1)
	v_dual_sub_nc_u32 v73, v8, v103 :: v_dual_sub_nc_u32 v74, v10, v72
	v_lshlrev_b32_e32 v8, 4, v73
	s_delay_alu instid0(VALU_DEP_2) | instskip(NEXT) | instid1(VALU_DEP_2)
	v_cmp_lt_i32_e64 s13, 15, v74
	v_lshl_add_u32 v8, v9, 9, v8
	s_delay_alu instid0(VALU_DEP_2) | instskip(NEXT) | instid1(VALU_DEP_1)
	v_add_co_ci_u32_e64 v11, null, 0, v11, s13
	v_dual_sub_nc_u32 v103, v10, v8 :: v_dual_sub_nc_u32 v75, v11, v9
	s_delay_alu instid0(VALU_DEP_1)
	v_cmpx_lt_i32_e32 15, v103
	s_cbranch_execz .LBB4_590
; %bb.585:                              ;   in Loop: Header=BB4_499 Depth=2
	s_trap 2
	ds_load_b64 v[10:11], v0
	v_add_nc_u32_e32 v8, v8, v63
	s_mov_b32 s72, 0
	s_delay_alu instid0(VALU_DEP_1) | instskip(NEXT) | instid1(VALU_DEP_1)
	v_ashrrev_i32_e32 v9, 31, v8
	v_add_nc_u64_e32 v[40:41], v[8:9], v[116:117]
	v_add_nc_u64_e32 v[42:43], v[8:9], v[118:119]
	;; [unrolled: 1-line block ×3, first 2 shown]
	s_wait_dscnt 0x0
	v_add_nc_u64_e32 v[46:47], v[10:11], v[8:9]
.LBB4_586:                              ;   Parent Loop BB4_47 Depth=1
                                        ;     Parent Loop BB4_499 Depth=2
                                        ; =>    This Loop Header: Depth=3
                                        ;         Child Loop BB4_587 Depth 4
	global_load_b128 v[8:11], v[44:45], off th:TH_LOAD_NT
	global_load_b128 v[76:79], v[46:47], off th:TH_LOAD_NT
	s_mov_b64 s[40:41], 0
	s_mov_b32 s73, -1
	s_wait_loadcnt 0x0
	v_dual_mul_f32 v8, v8, v76 :: v_dual_mul_f32 v9, v9, v77
	v_dual_mul_f32 v10, v10, v78 :: v_dual_mul_f32 v11, v11, v79
.LBB4_587:                              ;   Parent Loop BB4_47 Depth=1
                                        ;     Parent Loop BB4_499 Depth=2
                                        ;       Parent Loop BB4_586 Depth=3
                                        ; =>      This Inner Loop Header: Depth=4
	s_cmp_eq_u32 s40, 1
	s_cselect_b32 vcc_lo, -1, 0
	s_cmp_eq_u32 s40, 0
	s_wait_xcnt 0x0
	v_dual_cndmask_b32 v77, v41, v43 :: v_dual_cndmask_b32 v76, v40, v42
	s_cselect_b32 s14, -1, 0
	s_and_b32 s15, exec_lo, s73
	s_mov_b64 s[40:41], 1
	s_mov_b32 s73, 0
	v_add_nc_u64_e32 v[78:79], 0x200, v[76:77]
	global_store_b128 v[76:77], v[8:11], off th:TH_STORE_NT
	v_dual_cndmask_b32 v43, v43, v79 :: v_dual_cndmask_b32 v42, v42, v78
	v_dual_cndmask_b32 v41, v41, v79, s14 :: v_dual_cndmask_b32 v40, v40, v78, s14
	s_mov_b32 vcc_lo, s15
	s_cbranch_vccnz .LBB4_587
; %bb.588:                              ;   in Loop: Header=BB4_586 Depth=3
	v_sub_nc_u32_e32 v103, v103, v50
	s_wait_xcnt 0x2
	v_add_nc_u64_e32 v[44:45], v[44:45], v[68:69]
	s_wait_xcnt 0x1
	v_add_nc_u64_e32 v[46:47], v[46:47], v[68:69]
	v_add_nc_u64_e32 v[40:41], v[40:41], v[64:65]
	;; [unrolled: 1-line block ×3, first 2 shown]
	v_cmp_gt_i32_e32 vcc_lo, 16, v103
	v_sub_nc_u32_e32 v75, v75, v32
	s_or_b32 s72, vcc_lo, s72
	s_wait_xcnt 0x0
	s_and_not1_b32 exec_lo, exec_lo, s72
	s_cbranch_execnz .LBB4_586
; %bb.589:                              ;   in Loop: Header=BB4_499 Depth=2
	s_or_b32 exec_lo, exec_lo, s72
.LBB4_590:                              ;   in Loop: Header=BB4_499 Depth=2
	s_delay_alu instid0(SALU_CYCLE_1) | instskip(SKIP_3) | instid1(VALU_DEP_1)
	s_or_b32 exec_lo, exec_lo, s63
	v_dual_mov_b32 v103, 0 :: v_dual_bitop2_b32 v9, 12, v101 bitop3:0x40
	s_mov_b32 s14, 0
	s_mov_b32 s15, exec_lo
                                        ; implicit-def: $vgpr45
                                        ; implicit-def: $vgpr8
	v_cndmask_b32_e64 v44, v74, v9, s13
	s_delay_alu instid0(VALU_DEP_1)
	v_cmpx_ne_u32_e32 0, v44
	s_cbranch_execz .LBB4_592
; %bb.591:                              ;   in Loop: Header=BB4_499 Depth=2
	v_cmp_lt_i32_e32 vcc_lo, 0, v75
	s_mov_b32 s14, exec_lo
	v_dual_cndmask_b32 v8, 0, v32 :: v_dual_sub_nc_u32 v9, v74, v9
	s_delay_alu instid0(VALU_DEP_1) | instskip(NEXT) | instid1(VALU_DEP_1)
	v_dual_cndmask_b32 v9, 0, v9, s13 :: v_dual_sub_nc_u32 v8, v8, v75
	v_add3_u32 v103, v72, v63, v9
	s_delay_alu instid0(VALU_DEP_2) | instskip(NEXT) | instid1(VALU_DEP_1)
	v_lshl_add_u32 v45, v8, 5, v73
	v_ashrrev_i32_e32 v8, 31, v45
	s_delay_alu instid0(VALU_DEP_1) | instskip(NEXT) | instid1(VALU_DEP_1)
	v_lshrrev_b32_e32 v8, 27, v8
	v_add_nc_u32_e32 v8, v45, v8
	s_delay_alu instid0(VALU_DEP_1)
	v_ashrrev_i32_e32 v8, 5, v8
.LBB4_592:                              ;   in Loop: Header=BB4_499 Depth=2
	s_or_b32 exec_lo, exec_lo, s15
	s_delay_alu instid0(SALU_CYCLE_1)
	s_and_b32 s13, s14, exec_lo
.LBB4_593:                              ;   in Loop: Header=BB4_499 Depth=2
	s_or_b32 exec_lo, exec_lo, s62
	s_and_saveexec_b32 s15, s13
	s_cbranch_execz .LBB4_604
.LBB4_594:                              ;   in Loop: Header=BB4_499 Depth=2
	v_ashrrev_i32_e32 v9, 31, v44
	s_mov_b32 s13, exec_lo
	s_delay_alu instid0(VALU_DEP_1) | instskip(NEXT) | instid1(VALU_DEP_1)
	v_lshrrev_b32_e32 v9, 23, v9
	v_add_nc_u32_e32 v9, v44, v9
	s_delay_alu instid0(VALU_DEP_1) | instskip(SKIP_1) | instid1(VALU_DEP_1)
	v_ashrrev_i32_e32 v63, 9, v9
	v_ashrrev_i32_e32 v9, 31, v45
	v_dual_lshrrev_b32 v47, 27, v9 :: v_dual_sub_nc_u32 v46, v63, v8
	s_delay_alu instid0(VALU_DEP_1)
	v_cmpx_lt_i32_e32 0, v46
	s_cbranch_execz .LBB4_598
; %bb.595:                              ;   in Loop: Header=BB4_499 Depth=2
	s_delay_alu instid0(VALU_DEP_2) | instskip(SKIP_4) | instid1(VALU_DEP_1)
	v_dual_add_nc_u32 v9, v45, v47 :: v_dual_lshlrev_b32 v8, 9, v8
	s_trap 2
	ds_load_b64 v[42:43], v0
	s_mov_b32 s14, 0
	v_and_b32_e32 v9, 0x3fffffe0, v9
	v_sub_nc_u32_e32 v9, v45, v9
	s_delay_alu instid0(VALU_DEP_1) | instskip(NEXT) | instid1(VALU_DEP_1)
	v_lshlrev_b32_e32 v9, 2, v9
	v_add3_u32 v72, v9, v103, v8
	s_delay_alu instid0(VALU_DEP_1) | instskip(NEXT) | instid1(VALU_DEP_1)
	v_ashrrev_i32_e32 v73, 31, v72
	v_add_nc_u64_e32 v[8:9], v[72:73], v[116:117]
	v_add_nc_u64_e32 v[10:11], v[72:73], v[118:119]
	;; [unrolled: 1-line block ×3, first 2 shown]
	s_wait_dscnt 0x0
	v_add_nc_u64_e32 v[42:43], v[42:43], v[72:73]
.LBB4_596:                              ;   Parent Loop BB4_47 Depth=1
                                        ;     Parent Loop BB4_499 Depth=2
                                        ; =>    This Inner Loop Header: Depth=3
	s_clause 0x3
	flat_load_b32 v72, v[40:41] th:TH_LOAD_NT
	flat_load_b32 v73, v[40:41] offset:128 th:TH_LOAD_NT
	flat_load_b32 v74, v[40:41] offset:256 th:TH_LOAD_NT
	;; [unrolled: 1-line block ×3, first 2 shown]
	s_clause 0x3
	flat_load_b32 v76, v[42:43] th:TH_LOAD_NT
	flat_load_b32 v77, v[42:43] offset:128 th:TH_LOAD_NT
	flat_load_b32 v78, v[42:43] offset:256 th:TH_LOAD_NT
	;; [unrolled: 1-line block ×3, first 2 shown]
	v_sub_nc_u32_e32 v46, v46, v32
	s_wait_xcnt 0x4
	v_add_nc_u64_e32 v[40:41], v[40:41], v[50:51]
	s_wait_xcnt 0x0
	v_add_nc_u64_e32 v[42:43], v[42:43], v[50:51]
	s_wait_loadcnt_dscnt 0x202
	v_dual_mul_f32 v72, v72, v76 :: v_dual_mul_f32 v73, v73, v77
	s_wait_loadcnt_dscnt 0x0
	v_dual_mul_f32 v74, v74, v78 :: v_dual_mul_f32 v75, v75, v79
	v_cmp_gt_i32_e32 vcc_lo, 1, v46
	s_clause 0x3
	flat_store_b32 v[8:9], v72 th:TH_STORE_NT
	flat_store_b32 v[8:9], v73 offset:128 th:TH_STORE_NT
	flat_store_b32 v[8:9], v74 offset:256 th:TH_STORE_NT
	;; [unrolled: 1-line block ×3, first 2 shown]
	s_clause 0x3
	flat_store_b32 v[10:11], v72 th:TH_STORE_NT
	flat_store_b32 v[10:11], v73 offset:128 th:TH_STORE_NT
	flat_store_b32 v[10:11], v74 offset:256 th:TH_STORE_NT
	;; [unrolled: 1-line block ×3, first 2 shown]
	s_wait_xcnt 0x4
	v_add_nc_u64_e32 v[8:9], v[8:9], v[50:51]
	s_wait_xcnt 0x0
	v_add_nc_u64_e32 v[10:11], v[10:11], v[50:51]
	s_or_b32 s14, vcc_lo, s14
	s_delay_alu instid0(SALU_CYCLE_1)
	s_and_not1_b32 exec_lo, exec_lo, s14
	s_cbranch_execnz .LBB4_596
; %bb.597:                              ;   in Loop: Header=BB4_499 Depth=2
	s_or_b32 exec_lo, exec_lo, s14
.LBB4_598:                              ;   in Loop: Header=BB4_499 Depth=2
	s_delay_alu instid0(SALU_CYCLE_1) | instskip(SKIP_1) | instid1(VALU_DEP_1)
	s_or_b32 exec_lo, exec_lo, s13
	v_lshlrev_b32_e32 v8, 9, v63
	v_cmp_ne_u32_e32 vcc_lo, v44, v8
	s_and_b32 exec_lo, exec_lo, vcc_lo
	s_cbranch_execz .LBB4_604
; %bb.599:                              ;   in Loop: Header=BB4_499 Depth=2
	v_dual_add_nc_u32 v9, v45, v47 :: v_dual_lshlrev_b32 v10, 5, v46
	s_delay_alu instid0(VALU_DEP_1) | instskip(NEXT) | instid1(VALU_DEP_1)
	v_and_b32_e32 v9, 0xffffffe0, v9
	v_sub_nc_u32_e32 v9, v45, v9
	s_delay_alu instid0(VALU_DEP_1) | instskip(NEXT) | instid1(VALU_DEP_1)
	v_sub_nc_u32_e32 v9, v9, v10
	v_ashrrev_i32_e32 v10, 31, v9
	s_delay_alu instid0(VALU_DEP_1) | instskip(NEXT) | instid1(VALU_DEP_1)
	v_lshrrev_b32_e32 v10, 27, v10
	v_add_nc_u32_e32 v10, v9, v10
	s_delay_alu instid0(VALU_DEP_1) | instskip(NEXT) | instid1(VALU_DEP_1)
	v_and_b32_e32 v11, 0x3fffffe0, v10
	v_dual_lshlrev_b32 v10, 2, v10 :: v_dual_sub_nc_u32 v9, v9, v11
	s_delay_alu instid0(VALU_DEP_1) | instskip(NEXT) | instid1(VALU_DEP_2)
	v_and_b32_e32 v10, 0xffffff80, v10
	v_lshlrev_b32_e32 v9, 2, v9
	s_delay_alu instid0(VALU_DEP_1) | instskip(NEXT) | instid1(VALU_DEP_1)
	v_add3_u32 v8, v10, v9, v8
	v_sub_nc_u32_e32 v42, v44, v8
	s_delay_alu instid0(VALU_DEP_1)
	v_cmp_lt_i32_e32 vcc_lo, 3, v42
	s_and_b32 exec_lo, exec_lo, vcc_lo
	s_cbranch_execz .LBB4_604
; %bb.600:                              ;   in Loop: Header=BB4_499 Depth=2
	s_trap 2
	ds_load_b64 v[40:41], v0
	v_add_nc_u32_e32 v44, v8, v103
	s_mov_b32 s62, 0
	s_delay_alu instid0(VALU_DEP_1) | instskip(NEXT) | instid1(VALU_DEP_1)
	v_ashrrev_i32_e32 v45, 31, v44
	v_add_nc_u64_e32 v[8:9], v[44:45], v[116:117]
	v_add_nc_u64_e32 v[10:11], v[44:45], v[118:119]
	;; [unrolled: 1-line block ×3, first 2 shown]
	s_wait_dscnt 0x0
	v_add_nc_u64_e32 v[40:41], v[40:41], v[44:45]
.LBB4_601:                              ;   Parent Loop BB4_47 Depth=1
                                        ;     Parent Loop BB4_499 Depth=2
                                        ; =>    This Loop Header: Depth=3
                                        ;         Child Loop BB4_602 Depth 4
	flat_load_b32 v103, v[118:119] th:TH_LOAD_NT
	flat_load_b32 v43, v[40:41] th:TH_LOAD_NT
	s_mov_b64 s[40:41], 0
	s_mov_b32 s63, -1
	s_wait_loadcnt_dscnt 0x0
	v_mul_f32_e32 v103, v103, v43
.LBB4_602:                              ;   Parent Loop BB4_47 Depth=1
                                        ;     Parent Loop BB4_499 Depth=2
                                        ;       Parent Loop BB4_601 Depth=3
                                        ; =>      This Inner Loop Header: Depth=4
	s_cmp_eq_u32 s40, 1
	s_cselect_b32 vcc_lo, -1, 0
	s_cmp_eq_u32 s40, 0
	s_wait_xcnt 0x0
	v_dual_cndmask_b32 v45, v9, v11 :: v_dual_cndmask_b32 v44, v8, v10
	s_cselect_b32 s13, -1, 0
	s_and_b32 s14, exec_lo, s63
	s_mov_b64 s[40:41], 1
	s_mov_b32 s63, 0
	v_add_nc_u64_e32 v[46:47], 0x80, v[44:45]
	flat_store_b32 v[44:45], v103 th:TH_STORE_NT
	v_dual_cndmask_b32 v11, v11, v47 :: v_dual_cndmask_b32 v10, v10, v46
	v_dual_cndmask_b32 v9, v9, v47, s13 :: v_dual_cndmask_b32 v8, v8, v46, s13
	s_mov_b32 vcc_lo, s14
	s_cbranch_vccnz .LBB4_602
; %bb.603:                              ;   in Loop: Header=BB4_601 Depth=3
	v_sub_nc_u32_e32 v42, v42, v52
	s_wait_xcnt 0x2
	v_add_nc_u64_e32 v[118:119], v[118:119], v[80:81]
	s_wait_xcnt 0x1
	v_add_nc_u64_e32 v[40:41], v[40:41], v[80:81]
	v_add_nc_u64_e32 v[8:9], v[8:9], v[66:67]
	;; [unrolled: 1-line block ×3, first 2 shown]
	v_cmp_gt_i32_e32 vcc_lo, 4, v42
	s_or_b32 s62, vcc_lo, s62
	s_wait_xcnt 0x0
	s_and_not1_b32 exec_lo, exec_lo, s62
	s_cbranch_execnz .LBB4_601
.LBB4_604:                              ;   in Loop: Header=BB4_499 Depth=2
	s_or_b32 exec_lo, exec_lo, s15
	s_mov_b32 s13, 0
.LBB4_605:                              ;   in Loop: Header=BB4_499 Depth=2
	s_delay_alu instid0(SALU_CYCLE_1)
	s_and_b32 vcc_lo, exec_lo, s13
	s_cbranch_vccz .LBB4_634
; %bb.606:                              ;   in Loop: Header=BB4_499 Depth=2
	s_mov_b32 s13, -1
	s_and_saveexec_b32 s14, s12
	s_cbranch_execz .LBB4_608
; %bb.607:                              ;   in Loop: Header=BB4_499 Depth=2
	ds_load_b32 v8, v0 offset:720
	s_wait_dscnt 0x0
	v_and_b32_e32 v8, 15, v8
	s_delay_alu instid0(VALU_DEP_1)
	v_cmp_eq_u32_e32 vcc_lo, 0, v8
	s_or_not1_b32 s13, vcc_lo, exec_lo
.LBB4_608:                              ;   in Loop: Header=BB4_499 Depth=2
	s_or_b32 exec_lo, exec_lo, s14
	s_and_saveexec_b32 s14, s7
	s_cbranch_execz .LBB4_610
; %bb.609:                              ;   in Loop: Header=BB4_499 Depth=2
	ds_load_b32 v8, v0 offset:784
	s_wait_dscnt 0x0
	v_and_b32_e32 v8, 15, v8
	s_delay_alu instid0(VALU_DEP_1) | instskip(SKIP_3) | instid1(SALU_CYCLE_1)
	v_cmp_eq_u32_e32 vcc_lo, 0, v8
	s_and_b32 s15, s13, vcc_lo
	s_and_not1_b32 s13, s13, exec_lo
	s_and_b32 s15, s15, exec_lo
	s_or_b32 s13, s13, s15
.LBB4_610:                              ;   in Loop: Header=BB4_499 Depth=2
	s_or_b32 exec_lo, exec_lo, s14
	s_xor_b32 s13, s13, -1
	v_mov_b32_e32 v103, 0
	v_cndmask_b32_e64 v8, 0, 1, s13
	s_mov_b32 s15, -1
	s_delay_alu instid0(VALU_DEP_1)
	v_cmp_ne_u32_e32 vcc_lo, 0, v8
	s_cbranch_vccz .LBB4_612
; %bb.611:                              ;   in Loop: Header=BB4_499 Depth=2
	v_dual_mov_b32 v40, v0 :: v_dual_mov_b32 v8, v60
	s_and_saveexec_b32 s13, s15
	s_cbranch_execnz .LBB4_625
	s_branch .LBB4_633
.LBB4_612:                              ;   in Loop: Header=BB4_499 Depth=2
	v_ashrrev_i32_e32 v8, 31, v101
	s_mov_b32 s13, exec_lo
	s_delay_alu instid0(VALU_DEP_1) | instskip(NEXT) | instid1(VALU_DEP_1)
	v_lshrrev_b32_e32 v8, 22, v8
	v_add_nc_u32_e32 v8, v101, v8
	s_delay_alu instid0(VALU_DEP_1) | instskip(NEXT) | instid1(VALU_DEP_1)
	v_ashrrev_i32_e32 v103, 10, v8
	v_sub_nc_u32_e32 v42, v103, v60
	s_delay_alu instid0(VALU_DEP_1)
	v_cmpx_lt_i32_e32 0, v42
	s_cbranch_execz .LBB4_616
; %bb.613:                              ;   in Loop: Header=BB4_499 Depth=2
	s_trap 2
	ds_load_b64 v[10:11], v0
	v_add_nc_u64_e32 v[8:9], v[114:115], v[82:83]
	v_add_nc_u64_e32 v[118:119], v[116:117], v[82:83]
	s_mov_b32 s14, 0
	s_wait_dscnt 0x0
	v_add_nc_u64_e32 v[10:11], v[10:11], v[82:83]
.LBB4_614:                              ;   Parent Loop BB4_47 Depth=1
                                        ;     Parent Loop BB4_499 Depth=2
                                        ; =>    This Inner Loop Header: Depth=3
	global_load_b128 v[44:47], v[10:11], off th:TH_LOAD_NT
	s_clause 0x1
	global_load_b128 v[72:75], v[8:9], off th:TH_LOAD_NT
	global_load_b128 v[76:79], v[8:9], off offset:512 th:TH_LOAD_NT
	global_load_b128 v[88:91], v[10:11], off offset:512 th:TH_LOAD_NT
	v_sub_nc_u32_e32 v42, v42, v32
	s_wait_xcnt 0x1
	v_add_nc_u64_e32 v[8:9], v[8:9], v[54:55]
	s_wait_xcnt 0x0
	v_add_nc_u64_e32 v[10:11], v[10:11], v[54:55]
	s_wait_loadcnt 0x2
	v_dual_mul_f32 v44, v72, v44 :: v_dual_mul_f32 v46, v74, v46
	v_dual_mul_f32 v45, v73, v45 :: v_dual_mul_f32 v47, v75, v47
	s_wait_loadcnt 0x0
	v_dual_mul_f32 v72, v76, v88 :: v_dual_mul_f32 v73, v77, v89
	v_dual_mul_f32 v74, v78, v90 :: v_dual_mul_f32 v75, v79, v91
	v_cmp_gt_i32_e32 vcc_lo, 1, v42
	s_clause 0x1
	global_store_b128 v[118:119], v[44:47], off th:TH_STORE_NT
	global_store_b128 v[118:119], v[72:75], off offset:512 th:TH_STORE_NT
	s_wait_xcnt 0x0
	v_add_nc_u64_e32 v[118:119], v[118:119], v[54:55]
	s_or_b32 s14, vcc_lo, s14
	s_delay_alu instid0(SALU_CYCLE_1)
	s_and_not1_b32 exec_lo, exec_lo, s14
	s_cbranch_execnz .LBB4_614
; %bb.615:                              ;   in Loop: Header=BB4_499 Depth=2
	s_or_b32 exec_lo, exec_lo, s14
.LBB4_616:                              ;   in Loop: Header=BB4_499 Depth=2
	s_delay_alu instid0(SALU_CYCLE_1) | instskip(SKIP_3) | instid1(VALU_DEP_1)
	s_or_b32 exec_lo, exec_lo, s13
	v_dual_lshlrev_b32 v41, 10, v103 :: v_dual_mov_b32 v103, 0
	s_mov_b32 s15, 0
	s_mov_b32 s14, exec_lo
                                        ; implicit-def: $vgpr40
                                        ; implicit-def: $vgpr8
	v_cmpx_ne_u32_e64 v101, v41
	s_cbranch_execz .LBB4_624
; %bb.617:                              ;   in Loop: Header=BB4_499 Depth=2
	v_dual_lshlrev_b32 v8, 5, v42 :: v_dual_sub_nc_u32 v10, v101, v41
	s_mov_b32 s15, exec_lo
	s_delay_alu instid0(VALU_DEP_1) | instskip(NEXT) | instid1(VALU_DEP_1)
	v_dual_sub_nc_u32 v8, v61, v8 :: v_dual_ashrrev_i32 v11, 31, v10
	v_dual_ashrrev_i32 v9, 31, v8 :: v_dual_lshrrev_b32 v11, 23, v11
	s_delay_alu instid0(VALU_DEP_1) | instskip(NEXT) | instid1(VALU_DEP_1)
	v_lshrrev_b32_e32 v9, 27, v9
	v_dual_add_nc_u32 v9, v8, v9 :: v_dual_add_nc_u32 v11, v10, v11
	s_delay_alu instid0(VALU_DEP_1) | instskip(SKIP_1) | instid1(VALU_DEP_3)
	v_and_b32_e32 v103, 0xffffffe0, v9
	v_ashrrev_i32_e32 v9, 5, v9
	v_and_b32_e32 v42, 0xfffffe00, v11
	v_ashrrev_i32_e32 v11, 9, v11
	s_delay_alu instid0(VALU_DEP_2) | instskip(NEXT) | instid1(VALU_DEP_1)
	v_dual_sub_nc_u32 v43, v8, v103 :: v_dual_sub_nc_u32 v44, v10, v42
	v_cmp_lt_i32_e32 vcc_lo, 15, v44
	s_delay_alu instid0(VALU_DEP_3) | instskip(NEXT) | instid1(VALU_DEP_1)
	v_add_co_ci_u32_e64 v11, null, 0, v11, vcc_lo
	v_dual_lshlrev_b32 v8, 4, v43 :: v_dual_sub_nc_u32 v45, v11, v9
	s_delay_alu instid0(VALU_DEP_1) | instskip(NEXT) | instid1(VALU_DEP_1)
	v_lshl_add_u32 v8, v9, 9, v8
	v_sub_nc_u32_e32 v103, v10, v8
	s_delay_alu instid0(VALU_DEP_1)
	v_cmpx_lt_i32_e32 15, v103
	s_cbranch_execz .LBB4_621
; %bb.618:                              ;   in Loop: Header=BB4_499 Depth=2
	s_trap 2
	ds_load_b64 v[10:11], v0
	v_add_nc_u32_e32 v118, v8, v41
	s_mov_b32 s40, 0
	s_delay_alu instid0(VALU_DEP_1) | instskip(NEXT) | instid1(VALU_DEP_1)
	v_ashrrev_i32_e32 v119, 31, v118
	v_add_nc_u64_e32 v[8:9], v[118:119], v[114:115]
	s_wait_dscnt 0x0
	v_add_nc_u64_e32 v[10:11], v[10:11], v[118:119]
	v_add_nc_u64_e32 v[118:119], v[118:119], v[116:117]
.LBB4_619:                              ;   Parent Loop BB4_47 Depth=1
                                        ;     Parent Loop BB4_499 Depth=2
                                        ; =>    This Inner Loop Header: Depth=3
	global_load_b128 v[72:75], v[8:9], off th:TH_LOAD_NT
	global_load_b128 v[76:79], v[10:11], off th:TH_LOAD_NT
	v_sub_nc_u32_e32 v103, v103, v50
	s_wait_xcnt 0x1
	v_add_nc_u64_e32 v[8:9], v[8:9], v[50:51]
	s_wait_xcnt 0x0
	v_add_nc_u64_e32 v[10:11], v[10:11], v[50:51]
	s_wait_loadcnt 0x0
	v_dual_sub_nc_u32 v45, v45, v32 :: v_dual_mul_f32 v75, v75, v79
	v_dual_mul_f32 v72, v72, v76 :: v_dual_mul_f32 v73, v73, v77
	v_mul_f32_e32 v74, v74, v78
	v_cmp_gt_i32_e64 s13, 16, v103
	global_store_b128 v[118:119], v[72:75], off th:TH_STORE_NT
	s_wait_xcnt 0x0
	v_add_nc_u64_e32 v[118:119], v[118:119], v[50:51]
	s_or_b32 s40, s13, s40
	s_delay_alu instid0(SALU_CYCLE_1)
	s_and_not1_b32 exec_lo, exec_lo, s40
	s_cbranch_execnz .LBB4_619
; %bb.620:                              ;   in Loop: Header=BB4_499 Depth=2
	s_or_b32 exec_lo, exec_lo, s40
.LBB4_621:                              ;   in Loop: Header=BB4_499 Depth=2
	s_delay_alu instid0(SALU_CYCLE_1) | instskip(SKIP_3) | instid1(VALU_DEP_1)
	s_or_b32 exec_lo, exec_lo, s15
	v_dual_mov_b32 v103, 0 :: v_dual_bitop2_b32 v9, 12, v101 bitop3:0x40
	s_mov_b32 s15, 0
	s_mov_b32 s40, exec_lo
                                        ; implicit-def: $vgpr40
                                        ; implicit-def: $vgpr8
	v_cndmask_b32_e32 v101, v44, v9, vcc_lo
	s_delay_alu instid0(VALU_DEP_1)
	v_cmpx_ne_u32_e32 0, v101
	s_cbranch_execz .LBB4_623
; %bb.622:                              ;   in Loop: Header=BB4_499 Depth=2
	v_cmp_lt_i32_e64 s13, 0, v45
	s_mov_b32 s15, exec_lo
	v_dual_sub_nc_u32 v9, v44, v9 :: v_dual_cndmask_b32 v8, 0, v32, s13
	s_delay_alu instid0(VALU_DEP_1) | instskip(NEXT) | instid1(VALU_DEP_2)
	v_cndmask_b32_e32 v9, 0, v9, vcc_lo
	v_sub_nc_u32_e32 v8, v8, v45
	s_delay_alu instid0(VALU_DEP_2) | instskip(NEXT) | instid1(VALU_DEP_2)
	v_add3_u32 v103, v42, v41, v9
	v_lshl_add_u32 v40, v8, 5, v43
	s_delay_alu instid0(VALU_DEP_1) | instskip(NEXT) | instid1(VALU_DEP_1)
	v_ashrrev_i32_e32 v8, 31, v40
	v_lshrrev_b32_e32 v8, 27, v8
	s_delay_alu instid0(VALU_DEP_1) | instskip(NEXT) | instid1(VALU_DEP_1)
	v_add_nc_u32_e32 v8, v40, v8
	v_ashrrev_i32_e32 v8, 5, v8
.LBB4_623:                              ;   in Loop: Header=BB4_499 Depth=2
	s_or_b32 exec_lo, exec_lo, s40
	s_delay_alu instid0(SALU_CYCLE_1)
	s_and_b32 s15, s15, exec_lo
.LBB4_624:                              ;   in Loop: Header=BB4_499 Depth=2
	s_or_b32 exec_lo, exec_lo, s14
	s_and_saveexec_b32 s13, s15
	s_cbranch_execz .LBB4_633
.LBB4_625:                              ;   in Loop: Header=BB4_499 Depth=2
	v_ashrrev_i32_e32 v9, 31, v101
	s_mov_b32 s14, exec_lo
	s_delay_alu instid0(VALU_DEP_1) | instskip(NEXT) | instid1(VALU_DEP_1)
	v_lshrrev_b32_e32 v9, 23, v9
	v_add_nc_u32_e32 v9, v101, v9
	s_delay_alu instid0(VALU_DEP_1) | instskip(NEXT) | instid1(VALU_DEP_1)
	v_ashrrev_i32_e32 v42, 9, v9
	v_sub_nc_u32_e32 v41, v42, v8
	s_delay_alu instid0(VALU_DEP_1)
	v_cmpx_lt_i32_e32 0, v41
	s_cbranch_execz .LBB4_629
; %bb.626:                              ;   in Loop: Header=BB4_499 Depth=2
	v_ashrrev_i32_e32 v9, 31, v40
	s_trap 2
	ds_load_b64 v[10:11], v0
	s_mov_b32 s15, 0
	v_dual_lshlrev_b32 v8, 9, v8 :: v_dual_lshrrev_b32 v9, 27, v9
	s_delay_alu instid0(VALU_DEP_1) | instskip(NEXT) | instid1(VALU_DEP_1)
	v_add_nc_u32_e32 v9, v40, v9
	v_and_b32_e32 v9, 0x3fffffe0, v9
	s_delay_alu instid0(VALU_DEP_1) | instskip(NEXT) | instid1(VALU_DEP_1)
	v_sub_nc_u32_e32 v9, v40, v9
	v_lshlrev_b32_e32 v9, 2, v9
	s_delay_alu instid0(VALU_DEP_1) | instskip(NEXT) | instid1(VALU_DEP_1)
	v_add3_u32 v118, v9, v103, v8
	v_ashrrev_i32_e32 v119, 31, v118
	s_delay_alu instid0(VALU_DEP_1)
	v_add_nc_u64_e32 v[8:9], v[118:119], v[114:115]
	s_wait_dscnt 0x0
	v_add_nc_u64_e32 v[10:11], v[10:11], v[118:119]
	v_add_nc_u64_e32 v[118:119], v[118:119], v[116:117]
.LBB4_627:                              ;   Parent Loop BB4_47 Depth=1
                                        ;     Parent Loop BB4_499 Depth=2
                                        ; =>    This Inner Loop Header: Depth=3
	s_clause 0x3
	flat_load_b32 v43, v[8:9] th:TH_LOAD_NT
	flat_load_b32 v44, v[8:9] offset:128 th:TH_LOAD_NT
	flat_load_b32 v45, v[8:9] offset:256 th:TH_LOAD_NT
	;; [unrolled: 1-line block ×3, first 2 shown]
	s_clause 0x3
	flat_load_b32 v47, v[10:11] th:TH_LOAD_NT
	flat_load_b32 v63, v[10:11] offset:128 th:TH_LOAD_NT
	flat_load_b32 v72, v[10:11] offset:256 th:TH_LOAD_NT
	;; [unrolled: 1-line block ×3, first 2 shown]
	v_sub_nc_u32_e32 v41, v41, v32
	s_wait_xcnt 0x4
	v_add_nc_u64_e32 v[8:9], v[8:9], v[50:51]
	s_wait_xcnt 0x0
	v_add_nc_u64_e32 v[10:11], v[10:11], v[50:51]
	s_wait_loadcnt_dscnt 0x303
	v_mul_f32_e32 v43, v43, v47
	s_wait_loadcnt_dscnt 0x101
	v_dual_mul_f32 v44, v44, v63 :: v_dual_mul_f32 v45, v45, v72
	s_wait_loadcnt_dscnt 0x0
	v_mul_f32_e32 v46, v46, v73
	v_cmp_gt_i32_e32 vcc_lo, 1, v41
	s_clause 0x3
	flat_store_b32 v[118:119], v43 th:TH_STORE_NT
	flat_store_b32 v[118:119], v44 offset:128 th:TH_STORE_NT
	flat_store_b32 v[118:119], v45 offset:256 th:TH_STORE_NT
	flat_store_b32 v[118:119], v46 offset:384 th:TH_STORE_NT
	s_wait_xcnt 0x0
	v_add_nc_u64_e32 v[118:119], v[118:119], v[50:51]
	s_or_b32 s15, vcc_lo, s15
	s_delay_alu instid0(SALU_CYCLE_1)
	s_and_not1_b32 exec_lo, exec_lo, s15
	s_cbranch_execnz .LBB4_627
; %bb.628:                              ;   in Loop: Header=BB4_499 Depth=2
	s_or_b32 exec_lo, exec_lo, s15
.LBB4_629:                              ;   in Loop: Header=BB4_499 Depth=2
	s_delay_alu instid0(SALU_CYCLE_1) | instskip(SKIP_1) | instid1(VALU_DEP_1)
	s_or_b32 exec_lo, exec_lo, s14
	v_lshlrev_b32_e32 v8, 9, v42
	v_cmp_ne_u32_e32 vcc_lo, v101, v8
	s_and_b32 exec_lo, exec_lo, vcc_lo
	s_cbranch_execz .LBB4_633
; %bb.630:                              ;   in Loop: Header=BB4_499 Depth=2
	v_dual_ashrrev_i32 v9, 31, v40 :: v_dual_lshlrev_b32 v10, 5, v41
	s_delay_alu instid0(VALU_DEP_1) | instskip(NEXT) | instid1(VALU_DEP_1)
	v_lshrrev_b32_e32 v9, 27, v9
	v_add_nc_u32_e32 v9, v40, v9
	s_delay_alu instid0(VALU_DEP_1) | instskip(NEXT) | instid1(VALU_DEP_1)
	v_and_b32_e32 v9, 0xffffffe0, v9
	v_sub_nc_u32_e32 v9, v40, v9
	s_delay_alu instid0(VALU_DEP_1) | instskip(NEXT) | instid1(VALU_DEP_1)
	v_sub_nc_u32_e32 v9, v9, v10
	v_ashrrev_i32_e32 v10, 31, v9
	s_delay_alu instid0(VALU_DEP_1) | instskip(NEXT) | instid1(VALU_DEP_1)
	v_lshrrev_b32_e32 v10, 27, v10
	v_add_nc_u32_e32 v10, v9, v10
	s_delay_alu instid0(VALU_DEP_1) | instskip(NEXT) | instid1(VALU_DEP_1)
	v_and_b32_e32 v11, 0x3fffffe0, v10
	v_sub_nc_u32_e32 v9, v9, v11
	s_delay_alu instid0(VALU_DEP_1) | instskip(NEXT) | instid1(VALU_DEP_1)
	v_dual_lshlrev_b32 v9, 2, v9 :: v_dual_lshlrev_b32 v10, 2, v10
	v_and_b32_e32 v10, 0xffffff80, v10
	s_delay_alu instid0(VALU_DEP_1) | instskip(NEXT) | instid1(VALU_DEP_1)
	v_add3_u32 v8, v10, v9, v8
	v_sub_nc_u32_e32 v101, v101, v8
	s_delay_alu instid0(VALU_DEP_1)
	v_cmp_lt_i32_e32 vcc_lo, 3, v101
	s_and_b32 exec_lo, exec_lo, vcc_lo
	s_cbranch_execz .LBB4_633
; %bb.631:                              ;   in Loop: Header=BB4_499 Depth=2
	s_trap 2
	ds_load_b64 v[10:11], v0
	v_add_nc_u32_e32 v118, v8, v103
	s_mov_b32 s14, 0
	s_delay_alu instid0(VALU_DEP_1) | instskip(NEXT) | instid1(VALU_DEP_1)
	v_ashrrev_i32_e32 v119, 31, v118
	v_add_nc_u64_e32 v[8:9], v[118:119], v[114:115]
	v_add_nc_u64_e32 v[114:115], v[118:119], v[116:117]
	s_wait_dscnt 0x0
	v_add_nc_u64_e32 v[10:11], v[10:11], v[118:119]
.LBB4_632:                              ;   Parent Loop BB4_47 Depth=1
                                        ;     Parent Loop BB4_499 Depth=2
                                        ; =>    This Inner Loop Header: Depth=3
	flat_load_b32 v103, v[8:9] th:TH_LOAD_NT
	flat_load_b32 v116, v[10:11] th:TH_LOAD_NT
	v_sub_nc_u32_e32 v101, v101, v52
	s_wait_xcnt 0x1
	v_add_nc_u64_e32 v[8:9], v[8:9], v[52:53]
	s_wait_xcnt 0x0
	v_add_nc_u64_e32 v[10:11], v[10:11], v[52:53]
	v_cmp_gt_i32_e32 vcc_lo, 4, v101
	s_or_b32 s14, vcc_lo, s14
	s_wait_loadcnt_dscnt 0x0
	v_mul_f32_e32 v103, v103, v116
	flat_store_b32 v[114:115], v103 th:TH_STORE_NT
	s_wait_xcnt 0x0
	v_add_nc_u64_e32 v[114:115], v[114:115], v[52:53]
	s_and_not1_b32 exec_lo, exec_lo, s14
	s_cbranch_execnz .LBB4_632
.LBB4_633:                              ;   in Loop: Header=BB4_499 Depth=2
	s_or_b32 exec_lo, exec_lo, s13
.LBB4_634:                              ;   in Loop: Header=BB4_499 Depth=2
	v_cmp_lt_i32_e64 s13, 0, v2
	s_and_saveexec_b32 s14, s2
	s_cbranch_execz .LBB4_575
.LBB4_635:                              ;   in Loop: Header=BB4_499 Depth=2
	s_and_saveexec_b32 s15, s3
	s_delay_alu instid0(SALU_CYCLE_1)
	s_xor_b32 s15, exec_lo, s15
	s_cbranch_execz .LBB4_650
; %bb.636:                              ;   in Loop: Header=BB4_499 Depth=2
	s_and_saveexec_b32 s40, s6
	s_cbranch_execz .LBB4_649
; %bb.637:                              ;   in Loop: Header=BB4_499 Depth=2
	s_mov_b32 s62, exec_lo
	s_mov_b32 s41, exec_lo
	v_mbcnt_lo_u32_b32 v2, s62, 0
	global_wb scope:SCOPE_DEV
	s_wait_storecnt 0x0
	s_wait_loadcnt_dscnt 0x0
	global_inv scope:SCOPE_DEV
	v_cmpx_eq_u32_e32 0, v2
	s_cbranch_execz .LBB4_639
; %bb.638:                              ;   in Loop: Header=BB4_499 Depth=2
	s_bcnt1_i32_b32 s62, s62
	s_delay_alu instid0(SALU_CYCLE_1)
	v_mov_b32_e32 v2, s62
	s_wait_loadcnt 0x0
	ds_add_u64 v0, v[2:3]
	s_trap 2
.LBB4_639:                              ;   in Loop: Header=BB4_499 Depth=2
	s_or_b32 exec_lo, exec_lo, s41
	s_trap 2
	ds_load_b64 v[8:9], v0
	s_wait_dscnt 0x0
	v_add_nc_u64_e32 v[12:13], v[12:13], v[32:33]
	s_mov_b32 s41, exec_lo
	s_delay_alu instid0(VALU_DEP_1)
	v_cmpx_lt_u64_e64 v[8:9], v[12:13]
	s_cbranch_execz .LBB4_648
; %bb.640:                              ;   in Loop: Header=BB4_499 Depth=2
	s_mov_b32 s62, 0
	s_mov_b32 s73, 0
                                        ; implicit-def: $sgpr63
                                        ; implicit-def: $sgpr72
	s_branch .LBB4_642
.LBB4_641:                              ;   in Loop: Header=BB4_642 Depth=3
	s_or_b32 exec_lo, exec_lo, s75
	s_delay_alu instid0(SALU_CYCLE_1) | instskip(NEXT) | instid1(SALU_CYCLE_1)
	s_and_b32 s74, exec_lo, s76
	s_or_b32 s62, s74, s62
	s_and_not1_b32 s63, s63, exec_lo
	s_and_b32 s74, s72, exec_lo
	s_delay_alu instid0(SALU_CYCLE_1)
	s_or_b32 s63, s63, s74
	s_and_not1_b32 exec_lo, exec_lo, s62
	s_cbranch_execz .LBB4_646
.LBB4_642:                              ;   Parent Loop BB4_47 Depth=1
                                        ;     Parent Loop BB4_499 Depth=2
                                        ; =>    This Inner Loop Header: Depth=3
	s_add_co_i32 s73, s73, 1
	s_delay_alu instid0(SALU_CYCLE_1) | instskip(SKIP_1) | instid1(SALU_CYCLE_1)
	s_cmp_lg_u32 s73, 0x2710
	s_cselect_b32 s74, -1, 0
	s_and_b32 vcc_lo, exec_lo, s74
	s_cbranch_vccz .LBB4_644
; %bb.643:                              ;   in Loop: Header=BB4_642 Depth=3
	s_mov_b32 s76, -1
	s_or_b32 s72, s72, exec_lo
	s_and_saveexec_b32 s75, s74
	s_cbranch_execz .LBB4_641
	s_branch .LBB4_645
.LBB4_644:                              ;   in Loop: Header=BB4_642 Depth=3
	s_trap 2
	ds_load_b64 v[8:9], v0
	s_and_not1_b32 s74, s74, exec_lo
	s_mov_b32 s73, 0
	s_wait_loadcnt_dscnt 0x0
	flat_load_b32 v2, v[8:9] scope:SCOPE_SYS
	s_wait_loadcnt_dscnt 0x0
	global_inv scope:SCOPE_SYS
	v_cmp_eq_u32_e32 vcc_lo, 0, v2
	s_and_b32 s75, vcc_lo, exec_lo
	s_delay_alu instid0(SALU_CYCLE_1)
	s_or_b32 s74, s74, s75
	s_mov_b32 s76, -1
	s_or_b32 s72, s72, exec_lo
	s_and_saveexec_b32 s75, s74
	s_cbranch_execz .LBB4_641
.LBB4_645:                              ;   in Loop: Header=BB4_642 Depth=3
	s_sleep 1
	s_trap 2
	ds_load_b64 v[8:9], v0
	s_wait_dscnt 0x0
	s_and_not1_b32 s72, s72, exec_lo
	v_cmp_ge_u64_e32 vcc_lo, v[8:9], v[12:13]
	s_or_not1_b32 s76, vcc_lo, exec_lo
	s_branch .LBB4_641
.LBB4_646:                              ;   in Loop: Header=BB4_499 Depth=2
	s_or_b32 exec_lo, exec_lo, s62
	s_and_saveexec_b32 s62, s63
	s_delay_alu instid0(SALU_CYCLE_1)
	s_xor_b32 s62, exec_lo, s62
	s_cbranch_execz .LBB4_648
; %bb.647:                              ;   in Loop: Header=BB4_499 Depth=2
	ds_store_b32 v0, v57
	s_trap 2
.LBB4_648:                              ;   in Loop: Header=BB4_499 Depth=2
	s_or_b32 exec_lo, exec_lo, s41
	;;#ASMSTART
	s_wakeup
	;;#ASMEND
.LBB4_649:                              ;   in Loop: Header=BB4_499 Depth=2
	s_or_b32 exec_lo, exec_lo, s40
.LBB4_650:                              ;   in Loop: Header=BB4_499 Depth=2
	s_and_not1_saveexec_b32 s15, s15
	s_cbranch_execz .LBB4_652
; %bb.651:                              ;   in Loop: Header=BB4_499 Depth=2
	global_wb scope:SCOPE_DEV
	s_wait_storecnt 0x0
	s_wait_loadcnt_dscnt 0x0
	global_inv scope:SCOPE_DEV
	s_barrier_signal -1
	s_barrier_wait -1
.LBB4_652:                              ;   in Loop: Header=BB4_499 Depth=2
	s_or_b32 exec_lo, exec_lo, s15
	s_delay_alu instid0(SALU_CYCLE_1) | instskip(SKIP_1) | instid1(SALU_CYCLE_1)
	s_or_b32 exec_lo, exec_lo, s14
                                        ; implicit-def: $vgpr2
	s_and_saveexec_b32 s14, s10
	s_xor_b32 s14, exec_lo, s14
	s_cbranch_execnz .LBB4_576
.LBB4_653:                              ;   in Loop: Header=BB4_499 Depth=2
	s_and_not1_saveexec_b32 s13, s14
	s_cbranch_execz .LBB4_672
.LBB4_654:                              ;   in Loop: Header=BB4_499 Depth=2
	s_and_saveexec_b32 s14, s3
	s_delay_alu instid0(SALU_CYCLE_1)
	s_xor_b32 s14, exec_lo, s14
	s_cbranch_execz .LBB4_669
; %bb.655:                              ;   in Loop: Header=BB4_499 Depth=2
	s_and_saveexec_b32 s15, s6
	s_cbranch_execz .LBB4_668
; %bb.656:                              ;   in Loop: Header=BB4_499 Depth=2
	s_mov_b32 s41, exec_lo
	s_mov_b32 s40, exec_lo
	v_mbcnt_lo_u32_b32 v2, s41, 0
	;;#ASMSTART
	s_waitcnt lgkmcnt(0) vmcnt(0)
	;;#ASMEND
	s_delay_alu instid0(VALU_DEP_1)
	v_cmpx_eq_u32_e32 0, v2
	s_cbranch_execz .LBB4_658
; %bb.657:                              ;   in Loop: Header=BB4_499 Depth=2
	s_bcnt1_i32_b32 s41, s41
	s_delay_alu instid0(SALU_CYCLE_1)
	v_mov_b32_e32 v2, s41
	s_wait_storecnt 0x0
	s_wait_loadcnt_dscnt 0x0
	ds_add_u64 v0, v[2:3]
	s_trap 2
.LBB4_658:                              ;   in Loop: Header=BB4_499 Depth=2
	s_or_b32 exec_lo, exec_lo, s40
	s_trap 2
	ds_load_b64 v[8:9], v0
	s_wait_dscnt 0x0
	v_add_nc_u64_e32 v[12:13], v[12:13], v[32:33]
	s_mov_b32 s40, exec_lo
	s_delay_alu instid0(VALU_DEP_1)
	v_cmpx_lt_u64_e64 v[8:9], v[12:13]
	s_cbranch_execz .LBB4_667
; %bb.659:                              ;   in Loop: Header=BB4_499 Depth=2
	s_mov_b32 s41, 0
	s_mov_b32 s72, 0
                                        ; implicit-def: $sgpr62
                                        ; implicit-def: $sgpr63
	s_branch .LBB4_661
.LBB4_660:                              ;   in Loop: Header=BB4_661 Depth=3
	s_or_b32 exec_lo, exec_lo, s74
	s_delay_alu instid0(SALU_CYCLE_1) | instskip(NEXT) | instid1(SALU_CYCLE_1)
	s_and_b32 s73, exec_lo, s75
	s_or_b32 s41, s73, s41
	s_and_not1_b32 s62, s62, exec_lo
	s_and_b32 s73, s63, exec_lo
	s_delay_alu instid0(SALU_CYCLE_1)
	s_or_b32 s62, s62, s73
	s_and_not1_b32 exec_lo, exec_lo, s41
	s_cbranch_execz .LBB4_665
.LBB4_661:                              ;   Parent Loop BB4_47 Depth=1
                                        ;     Parent Loop BB4_499 Depth=2
                                        ; =>    This Inner Loop Header: Depth=3
	s_add_co_i32 s72, s72, 1
	s_delay_alu instid0(SALU_CYCLE_1) | instskip(SKIP_1) | instid1(SALU_CYCLE_1)
	s_cmp_lg_u32 s72, 0x2710
	s_cselect_b32 s73, -1, 0
	s_and_b32 vcc_lo, exec_lo, s73
	s_cbranch_vccz .LBB4_663
; %bb.662:                              ;   in Loop: Header=BB4_661 Depth=3
	s_mov_b32 s75, -1
	s_or_b32 s63, s63, exec_lo
	s_and_saveexec_b32 s74, s73
	s_cbranch_execz .LBB4_660
	s_branch .LBB4_664
.LBB4_663:                              ;   in Loop: Header=BB4_661 Depth=3
	s_trap 2
	ds_load_b64 v[8:9], v0
	s_and_not1_b32 s73, s73, exec_lo
	s_mov_b32 s72, 0
	s_wait_storecnt 0x0
	s_wait_loadcnt_dscnt 0x0
	flat_load_b32 v2, v[8:9] scope:SCOPE_SYS
	s_wait_loadcnt_dscnt 0x0
	global_inv scope:SCOPE_SYS
	v_cmp_eq_u32_e32 vcc_lo, 0, v2
	s_and_b32 s74, vcc_lo, exec_lo
	s_delay_alu instid0(SALU_CYCLE_1)
	s_or_b32 s73, s73, s74
	s_mov_b32 s75, -1
	s_or_b32 s63, s63, exec_lo
	s_and_saveexec_b32 s74, s73
	s_cbranch_execz .LBB4_660
.LBB4_664:                              ;   in Loop: Header=BB4_661 Depth=3
	s_sleep 1
	s_trap 2
	ds_load_b64 v[8:9], v0
	s_wait_dscnt 0x0
	s_and_not1_b32 s63, s63, exec_lo
	v_cmp_ge_u64_e32 vcc_lo, v[8:9], v[12:13]
	s_or_not1_b32 s75, vcc_lo, exec_lo
	s_branch .LBB4_660
.LBB4_665:                              ;   in Loop: Header=BB4_499 Depth=2
	s_or_b32 exec_lo, exec_lo, s41
	s_and_saveexec_b32 s41, s62
	s_delay_alu instid0(SALU_CYCLE_1)
	s_xor_b32 s41, exec_lo, s41
	s_cbranch_execz .LBB4_667
; %bb.666:                              ;   in Loop: Header=BB4_499 Depth=2
	ds_store_b32 v0, v57
	s_trap 2
.LBB4_667:                              ;   in Loop: Header=BB4_499 Depth=2
	s_or_b32 exec_lo, exec_lo, s40
	;;#ASMSTART
	s_wakeup
	;;#ASMEND
.LBB4_668:                              ;   in Loop: Header=BB4_499 Depth=2
	s_or_b32 exec_lo, exec_lo, s15
.LBB4_669:                              ;   in Loop: Header=BB4_499 Depth=2
	s_and_not1_saveexec_b32 s14, s14
	s_cbranch_execz .LBB4_671
; %bb.670:                              ;   in Loop: Header=BB4_499 Depth=2
	;;#ASMSTART
	s_waitcnt lgkmcnt(0) vmcnt(0)
	;;#ASMEND
	s_barrier_signal -1
	s_barrier_wait -1
.LBB4_671:                              ;   in Loop: Header=BB4_499 Depth=2
	s_or_b32 exec_lo, exec_lo, s14
	v_and_b32_e32 v2, 16, v30
.LBB4_672:                              ;   in Loop: Header=BB4_499 Depth=2
	s_or_b32 exec_lo, exec_lo, s13
	s_delay_alu instid0(VALU_DEP_1) | instskip(SKIP_1) | instid1(SALU_CYCLE_1)
	v_cmp_ne_u32_e32 vcc_lo, 0, v2
	s_xor_b32 s13, s4, -1
	s_and_b32 s14, vcc_lo, s13
	s_delay_alu instid0(SALU_CYCLE_1)
	s_and_saveexec_b32 s13, s14
	s_cbranch_execz .LBB4_674
; %bb.673:                              ;   in Loop: Header=BB4_499 Depth=2
	global_wb scope:SCOPE_SYS
	s_wait_storecnt 0x0
	s_wait_loadcnt_dscnt 0x0
	flat_store_b32 v[26:27], v57 scope:SCOPE_SYS
.LBB4_674:                              ;   in Loop: Header=BB4_499 Depth=2
	s_wait_xcnt 0x0
	s_or_b32 exec_lo, exec_lo, s13
	v_and_b32_e32 v2, 48, v30
	s_mov_b32 s13, exec_lo
	s_delay_alu instid0(VALU_DEP_1)
	v_cmpx_ne_u32_e32 0, v2
	s_cbranch_execz .LBB4_498
; %bb.675:                              ;   in Loop: Header=BB4_499 Depth=2
	v_add_nc_u64_e32 v[86:87], 2, v[86:87]
	global_wb scope:SCOPE_SYS
	s_wait_storecnt 0x0
	s_wait_loadcnt_dscnt 0x0
	flat_store_b64 v[20:21], v[86:87] scope:SCOPE_SYS
	s_branch .LBB4_498
.LBB4_676:                              ;   in Loop: Header=BB4_47 Depth=1
	s_or_b32 exec_lo, exec_lo, s27
.LBB4_677:                              ;   in Loop: Header=BB4_47 Depth=1
	s_delay_alu instid0(SALU_CYCLE_1) | instskip(NEXT) | instid1(SALU_CYCLE_1)
	s_or_b32 exec_lo, exec_lo, s18
	s_mov_b32 s14, exec_lo
	v_cmpx_gt_i32_e32 2, v2
	s_cbranch_execz .LBB4_753
; %bb.678:                              ;   in Loop: Header=BB4_47 Depth=1
	v_cmp_eq_u32_e64 s18, 0, v2
	s_mov_b32 s15, 0
	s_branch .LBB4_680
.LBB4_679:                              ;   in Loop: Header=BB4_680 Depth=2
	s_wait_xcnt 0x0
	s_or_b32 exec_lo, exec_lo, s13
	v_add_nc_u32_e32 v102, v100, v102
	s_mov_b32 s18, 0
	s_and_not1_b32 exec_lo, exec_lo, s15
	s_cbranch_execz .LBB4_752
.LBB4_680:                              ;   Parent Loop BB4_47 Depth=1
                                        ; =>  This Loop Header: Depth=2
                                        ;       Child Loop BB4_686 Depth 3
                                        ;       Child Loop BB4_714 Depth 3
	;; [unrolled: 1-line block ×3, first 2 shown]
	s_delay_alu instid0(VALU_DEP_1) | instskip(SKIP_2) | instid1(VALU_DEP_2)
	v_sub_nc_u32_e32 v2, v62, v102
	v_and_b32_e32 v8, 12, v30
	s_mov_b32 s27, exec_lo
	v_min_i32_e32 v100, v100, v2
	s_delay_alu instid0(VALU_DEP_2)
	v_cmpx_ne_u32_e32 0, v8
	s_cbranch_execz .LBB4_706
; %bb.681:                              ;   in Loop: Header=BB4_680 Depth=2
	v_and_b32_e32 v2, 8, v30
	v_add_nc_u64_e32 v[8:9], 2, v[86:87]
	s_mov_b32 s40, exec_lo
	s_wait_loadcnt_dscnt 0x1
	s_delay_alu instid0(VALU_DEP_2) | instskip(NEXT) | instid1(VALU_DEP_1)
	v_add_nc_u64_e32 v[10:11], v[28:29], v[2:3]
	v_cmpx_lt_u64_e64 v[10:11], v[8:9]
	s_cbranch_execz .LBB4_693
; %bb.682:                              ;   in Loop: Header=BB4_680 Depth=2
	v_and_b32_e32 v10, 64, v30
	s_mov_b32 s41, 0
	s_mov_b32 s63, 0
                                        ; implicit-def: $sgpr60
                                        ; implicit-def: $sgpr61
                                        ; implicit-def: $sgpr62
	s_delay_alu instid0(VALU_DEP_1)
	v_cmp_eq_u32_e32 vcc_lo, 0, v10
	s_branch .LBB4_686
.LBB4_683:                              ;   in Loop: Header=BB4_686 Depth=3
	s_wait_loadcnt_dscnt 0x0
	v_add_nc_u64_e32 v[112:113], v[28:29], v[2:3]
	s_or_b32 s74, s74, exec_lo
	s_delay_alu instid0(VALU_DEP_1)
	v_cmp_ge_u64_e64 s13, v[112:113], v[8:9]
	s_or_not1_b32 s73, s13, exec_lo
.LBB4_684:                              ;   in Loop: Header=BB4_686 Depth=3
	s_or_b32 exec_lo, exec_lo, s76
	s_delay_alu instid0(SALU_CYCLE_1)
	s_and_not1_b32 s13, s62, exec_lo
	s_and_b32 s62, s74, exec_lo
	s_and_not1_b32 s61, s61, exec_lo
	s_and_b32 s73, s73, exec_lo
	s_or_b32 s62, s13, s62
	s_or_b32 s61, s61, s73
.LBB4_685:                              ;   in Loop: Header=BB4_686 Depth=3
	s_or_b32 exec_lo, exec_lo, s72
	s_delay_alu instid0(SALU_CYCLE_1) | instskip(NEXT) | instid1(SALU_CYCLE_1)
	s_and_b32 s13, exec_lo, s61
	s_or_b32 s41, s13, s41
	s_and_not1_b32 s13, s60, exec_lo
	s_and_b32 s60, s62, exec_lo
	s_delay_alu instid0(SALU_CYCLE_1)
	s_or_b32 s60, s13, s60
	s_and_not1_b32 exec_lo, exec_lo, s41
	s_cbranch_execz .LBB4_690
.LBB4_686:                              ;   Parent Loop BB4_47 Depth=1
                                        ;     Parent Loop BB4_680 Depth=2
                                        ; =>    This Inner Loop Header: Depth=3
	s_sleep 1
	s_wait_loadcnt_dscnt 0x0
	flat_load_b64 v[28:29], v[20:21] scope:SCOPE_SYS
	s_or_b32 s62, s62, exec_lo
	s_or_b32 s61, s61, exec_lo
                                        ; implicit-def: $vgpr10
	s_wait_xcnt 0x0
	s_and_saveexec_b32 s72, vcc_lo
	s_cbranch_execz .LBB4_685
; %bb.687:                              ;   in Loop: Header=BB4_686 Depth=3
	s_cmp_lt_i32 s63, 0x270f
	s_mov_b32 s73, -1
	s_cselect_b32 s75, -1, 0
	s_cmp_gt_i32 s63, 0x270e
	s_cbranch_scc0 .LBB4_689
; %bb.688:                              ;   in Loop: Header=BB4_686 Depth=3
	s_trap 2
	ds_load_b64 v[10:11], v0
	s_and_not1_b32 s63, s75, exec_lo
	s_mov_b32 s74, 0
	s_wait_storecnt 0x0
	s_wait_loadcnt_dscnt 0x0
	flat_load_b32 v10, v[10:11] scope:SCOPE_SYS
	s_wait_loadcnt_dscnt 0x0
	global_inv scope:SCOPE_SYS
	v_cmp_eq_u32_e64 s13, 0, v10
	s_and_b32 s13, s13, exec_lo
	s_delay_alu instid0(SALU_CYCLE_1)
	s_or_b32 s75, s63, s13
	s_mov_b32 s63, 0
	s_and_saveexec_b32 s76, s75
	s_cbranch_execz .LBB4_684
	s_branch .LBB4_683
.LBB4_689:                              ;   in Loop: Header=BB4_686 Depth=3
	s_add_co_i32 s63, s63, 1
	s_mov_b32 s74, -1
                                        ; implicit-def: $vgpr10
	s_and_saveexec_b32 s76, s75
	s_cbranch_execz .LBB4_684
	s_branch .LBB4_683
.LBB4_690:                              ;   in Loop: Header=BB4_680 Depth=2
	s_or_b32 exec_lo, exec_lo, s41
	s_xor_b32 s13, s60, -1
	s_delay_alu instid0(SALU_CYCLE_1) | instskip(NEXT) | instid1(SALU_CYCLE_1)
	s_and_saveexec_b32 s41, s13
	s_xor_b32 s13, exec_lo, s41
	s_cbranch_execz .LBB4_692
; %bb.691:                              ;   in Loop: Header=BB4_680 Depth=2
	v_or_b32_e32 v30, 64, v30
	s_wait_storecnt 0x0
	s_wait_loadcnt_dscnt 0x0
	ds_store_b32 v0, v10
	s_trap 2
.LBB4_692:                              ;   in Loop: Header=BB4_680 Depth=2
	s_or_b32 exec_lo, exec_lo, s13
.LBB4_693:                              ;   in Loop: Header=BB4_680 Depth=2
	s_delay_alu instid0(SALU_CYCLE_1) | instskip(SKIP_2) | instid1(VALU_DEP_1)
	s_or_b32 exec_lo, exec_lo, s40
	v_and_b32_e32 v10, 0x108, v30
	;;#ASMSTART
	s_wakeup
	;;#ASMEND
	v_cmp_ne_u32_e32 vcc_lo, 0x108, v10
                                        ; implicit-def: $vgpr10_vgpr11
	s_and_saveexec_b32 s13, vcc_lo
	s_delay_alu instid0(SALU_CYCLE_1)
	s_xor_b32 s13, exec_lo, s13
; %bb.694:                              ;   in Loop: Header=BB4_680 Depth=2
	v_dual_mov_b32 v11, v3 :: v_dual_bitop2_b32 v10, 7, v86 bitop3:0x40
                                        ; implicit-def: $vgpr86_vgpr87
; %bb.695:                              ;   in Loop: Header=BB4_680 Depth=2
	s_and_not1_saveexec_b32 s13, s13
	s_cbranch_execz .LBB4_697
; %bb.696:                              ;   in Loop: Header=BB4_680 Depth=2
	v_dual_ashrrev_i32 v101, 31, v100 :: v_dual_bitop2_b32 v10, 7, v86 bitop3:0x40
	v_mov_b32_e32 v11, v3
	s_delay_alu instid0(VALU_DEP_2) | instskip(NEXT) | instid1(VALU_DEP_3)
	v_mad_nc_u64_u32 v[86:87], v10, 24, v[6:7]
	v_lshlrev_b64_e32 v[112:113], 2, v[100:101]
	flat_store_b64 v[86:87], v[112:113] offset:8
.LBB4_697:                              ;   in Loop: Header=BB4_680 Depth=2
	s_wait_xcnt 0x0
	s_or_b32 exec_lo, exec_lo, s13
	v_and_b32_e32 v86, 0x100, v30
	s_mov_b32 s13, -1
	s_delay_alu instid0(VALU_DEP_1)
	v_cmp_ne_u32_e32 vcc_lo, 0, v86
                                        ; implicit-def: $vgpr86_vgpr87
	s_and_saveexec_b32 s40, vcc_lo
	s_cbranch_execz .LBB4_701
; %bb.698:                              ;   in Loop: Header=BB4_680 Depth=2
	v_mad_nc_u64_u32 v[112:113], v10, 24, v[6:7]
	s_delay_alu instid0(VALU_DEP_1)
	v_mad_u32 v113, v11, 24, v113
	flat_load_b32 v86, v[112:113]
	s_wait_loadcnt_dscnt 0x0
	v_cmp_eq_u32_e64 s13, 1, v86
	v_cmp_ne_u32_e32 vcc_lo, 1, v86
                                        ; implicit-def: $vgpr86_vgpr87
	s_wait_xcnt 0x0
	s_and_saveexec_b32 s41, s13
	s_cbranch_execz .LBB4_700
; %bb.699:                              ;   in Loop: Header=BB4_680 Depth=2
	flat_load_b32 v86, v[112:113] offset:4 scope:SCOPE_SYS
	s_wait_loadcnt_dscnt 0x0
	v_ashrrev_i32_e32 v87, 31, v86
	s_delay_alu instid0(VALU_DEP_1)
	v_lshrrev_b64 v[86:87], 2, v[86:87]
.LBB4_700:                              ;   in Loop: Header=BB4_680 Depth=2
	s_wait_xcnt 0x0
	s_or_b32 exec_lo, exec_lo, s41
	s_delay_alu instid0(SALU_CYCLE_1)
	s_or_not1_b32 s13, vcc_lo, exec_lo
.LBB4_701:                              ;   in Loop: Header=BB4_680 Depth=2
	s_or_b32 exec_lo, exec_lo, s40
	s_and_saveexec_b32 s40, s13
; %bb.702:                              ;   in Loop: Header=BB4_680 Depth=2
	v_mul_u64_e32 v[86:87], v[10:11], v[22:23]
; %bb.703:                              ;   in Loop: Header=BB4_680 Depth=2
	s_or_b32 exec_lo, exec_lo, s40
	v_cmp_eq_u32_e32 vcc_lo, 0, v2
	v_and_b32_e32 v101, 0x2000, v30
	s_delay_alu instid0(VALU_DEP_3) | instskip(SKIP_2) | instid1(VALU_DEP_1)
	v_lshl_add_u64 v[10:11], v[86:87], 2, v[24:25]
	s_mov_b32 s13, exec_lo
	v_cndmask_b32_e32 v2, 0xd0, v58, vcc_lo
	v_add_nc_u32_e32 v2, v0, v2
	ds_store_b64 v2, v[10:11] offset:584
	v_cmpx_ne_u32_e32 0, v101
	s_cbranch_execz .LBB4_705
; %bb.704:                              ;   in Loop: Header=BB4_680 Depth=2
	ds_load_b64 v[10:11], v0 offset:872
	s_wait_dscnt 0x0
	v_add_nc_u64_e32 v[10:11], 1, v[10:11]
	ds_store_b64 v0, v[10:11] offset:872
.LBB4_705:                              ;   in Loop: Header=BB4_680 Depth=2
	s_or_b32 exec_lo, exec_lo, s13
	v_mov_b64_e32 v[86:87], v[8:9]
.LBB4_706:                              ;   in Loop: Header=BB4_680 Depth=2
	s_or_b32 exec_lo, exec_lo, s27
	s_xor_b32 s13, s18, -1
	s_delay_alu instid0(SALU_CYCLE_1) | instskip(NEXT) | instid1(SALU_CYCLE_1)
	s_and_b32 s13, exec_lo, s13
	s_or_b32 s15, s13, s15
	s_and_saveexec_b32 s13, s2
	s_cbranch_execz .LBB4_725
; %bb.707:                              ;   in Loop: Header=BB4_680 Depth=2
	s_and_saveexec_b32 s18, s3
	s_delay_alu instid0(SALU_CYCLE_1)
	s_xor_b32 s18, exec_lo, s18
	s_cbranch_execz .LBB4_722
; %bb.708:                              ;   in Loop: Header=BB4_680 Depth=2
	s_and_saveexec_b32 s27, s6
	s_cbranch_execz .LBB4_721
; %bb.709:                              ;   in Loop: Header=BB4_680 Depth=2
	s_mov_b32 s41, exec_lo
	s_mov_b32 s40, exec_lo
	v_mbcnt_lo_u32_b32 v2, s41, 0
	global_wb scope:SCOPE_DEV
	s_wait_storecnt 0x0
	s_wait_loadcnt_dscnt 0x0
	global_inv scope:SCOPE_DEV
	v_cmpx_eq_u32_e32 0, v2
	s_cbranch_execz .LBB4_711
; %bb.710:                              ;   in Loop: Header=BB4_680 Depth=2
	s_bcnt1_i32_b32 s41, s41
	s_delay_alu instid0(SALU_CYCLE_1)
	v_mov_b32_e32 v2, s41
	s_wait_loadcnt 0x0
	ds_add_u64 v0, v[2:3]
	s_trap 2
.LBB4_711:                              ;   in Loop: Header=BB4_680 Depth=2
	s_or_b32 exec_lo, exec_lo, s40
	s_trap 2
	ds_load_b64 v[8:9], v0
	s_wait_dscnt 0x0
	v_add_nc_u64_e32 v[12:13], v[12:13], v[32:33]
	s_mov_b32 s40, exec_lo
	s_delay_alu instid0(VALU_DEP_1)
	v_cmpx_lt_u64_e64 v[8:9], v[12:13]
	s_cbranch_execz .LBB4_720
; %bb.712:                              ;   in Loop: Header=BB4_680 Depth=2
	s_mov_b32 s41, 0
	s_mov_b32 s62, 0
                                        ; implicit-def: $sgpr60
                                        ; implicit-def: $sgpr61
	s_branch .LBB4_714
.LBB4_713:                              ;   in Loop: Header=BB4_714 Depth=3
	s_or_b32 exec_lo, exec_lo, s72
	s_delay_alu instid0(SALU_CYCLE_1) | instskip(NEXT) | instid1(SALU_CYCLE_1)
	s_and_b32 s63, exec_lo, s73
	s_or_b32 s41, s63, s41
	s_and_not1_b32 s60, s60, exec_lo
	s_and_b32 s63, s61, exec_lo
	s_delay_alu instid0(SALU_CYCLE_1)
	s_or_b32 s60, s60, s63
	s_and_not1_b32 exec_lo, exec_lo, s41
	s_cbranch_execz .LBB4_718
.LBB4_714:                              ;   Parent Loop BB4_47 Depth=1
                                        ;     Parent Loop BB4_680 Depth=2
                                        ; =>    This Inner Loop Header: Depth=3
	s_add_co_i32 s62, s62, 1
	s_delay_alu instid0(SALU_CYCLE_1) | instskip(SKIP_1) | instid1(SALU_CYCLE_1)
	s_cmp_lg_u32 s62, 0x2710
	s_cselect_b32 s63, -1, 0
	s_and_b32 vcc_lo, exec_lo, s63
	s_cbranch_vccz .LBB4_716
; %bb.715:                              ;   in Loop: Header=BB4_714 Depth=3
	s_mov_b32 s73, -1
	s_or_b32 s61, s61, exec_lo
	s_and_saveexec_b32 s72, s63
	s_cbranch_execz .LBB4_713
	s_branch .LBB4_717
.LBB4_716:                              ;   in Loop: Header=BB4_714 Depth=3
	s_trap 2
	ds_load_b64 v[8:9], v0
	s_and_not1_b32 s63, s63, exec_lo
	s_mov_b32 s62, 0
	s_wait_loadcnt_dscnt 0x0
	flat_load_b32 v2, v[8:9] scope:SCOPE_SYS
	s_wait_loadcnt_dscnt 0x0
	global_inv scope:SCOPE_SYS
	v_cmp_eq_u32_e32 vcc_lo, 0, v2
	s_and_b32 s72, vcc_lo, exec_lo
	s_delay_alu instid0(SALU_CYCLE_1)
	s_or_b32 s63, s63, s72
	s_mov_b32 s73, -1
	s_or_b32 s61, s61, exec_lo
	s_and_saveexec_b32 s72, s63
	s_cbranch_execz .LBB4_713
.LBB4_717:                              ;   in Loop: Header=BB4_714 Depth=3
	s_sleep 1
	s_trap 2
	ds_load_b64 v[8:9], v0
	s_wait_dscnt 0x0
	s_and_not1_b32 s61, s61, exec_lo
	v_cmp_ge_u64_e32 vcc_lo, v[8:9], v[12:13]
	s_or_not1_b32 s73, vcc_lo, exec_lo
	s_branch .LBB4_713
.LBB4_718:                              ;   in Loop: Header=BB4_680 Depth=2
	s_or_b32 exec_lo, exec_lo, s41
	s_and_saveexec_b32 s41, s60
	s_delay_alu instid0(SALU_CYCLE_1)
	s_xor_b32 s41, exec_lo, s41
	s_cbranch_execz .LBB4_720
; %bb.719:                              ;   in Loop: Header=BB4_680 Depth=2
	ds_store_b32 v0, v57
	s_trap 2
.LBB4_720:                              ;   in Loop: Header=BB4_680 Depth=2
	s_or_b32 exec_lo, exec_lo, s40
	;;#ASMSTART
	s_wakeup
	;;#ASMEND
.LBB4_721:                              ;   in Loop: Header=BB4_680 Depth=2
	s_or_b32 exec_lo, exec_lo, s27
.LBB4_722:                              ;   in Loop: Header=BB4_680 Depth=2
	s_and_not1_saveexec_b32 s18, s18
	s_cbranch_execz .LBB4_724
; %bb.723:                              ;   in Loop: Header=BB4_680 Depth=2
	global_wb scope:SCOPE_DEV
	s_wait_storecnt 0x0
	s_wait_loadcnt_dscnt 0x0
	global_inv scope:SCOPE_DEV
	s_barrier_signal -1
	s_barrier_wait -1
.LBB4_724:                              ;   in Loop: Header=BB4_680 Depth=2
	s_or_b32 exec_lo, exec_lo, s18
.LBB4_725:                              ;   in Loop: Header=BB4_680 Depth=2
	s_delay_alu instid0(SALU_CYCLE_1) | instskip(SKIP_1) | instid1(SALU_CYCLE_1)
	s_or_b32 exec_lo, exec_lo, s13
                                        ; implicit-def: $vgpr2
	s_and_saveexec_b32 s13, s10
	s_xor_b32 s18, exec_lo, s13
	s_cbranch_execz .LBB4_729
; %bb.726:                              ;   in Loop: Header=BB4_680 Depth=2
	s_trap 2
	ds_load_b32 v2, v0
	v_cmp_lt_i32_e32 vcc_lo, 0, v100
	s_wait_dscnt 0x0
	v_readfirstlane_b32 s13, v2
	v_and_b32_e32 v2, 16, v30
	s_cmp_eq_u32 s13, 0
	s_delay_alu instid0(VALU_DEP_1) | instskip(SKIP_3) | instid1(SALU_CYCLE_1)
	v_cmp_ne_u32_e64 s13, 0, v2
	s_cselect_b32 s27, -1, 0
	v_and_b32_e32 v2, 16, v30
	s_and_b32 s27, vcc_lo, s27
	s_and_b32 s27, s13, s27
	s_delay_alu instid0(SALU_CYCLE_1)
	s_and_saveexec_b32 s13, s27
	s_cbranch_execz .LBB4_728
; %bb.727:                              ;   in Loop: Header=BB4_680 Depth=2
	v_mov_b32_e32 v2, 1
	global_wb scope:SCOPE_SYS
	s_wait_loadcnt 0x0
	s_wait_storecnt 0x0
	global_inv scope:SCOPE_SYS
.LBB4_728:                              ;   in Loop: Header=BB4_680 Depth=2
	s_or_b32 exec_lo, exec_lo, s13
	s_and_not1_saveexec_b32 s13, s18
	s_cbranch_execz .LBB4_748
	s_branch .LBB4_730
.LBB4_729:                              ;   in Loop: Header=BB4_680 Depth=2
	s_and_not1_saveexec_b32 s13, s18
	s_cbranch_execz .LBB4_748
.LBB4_730:                              ;   in Loop: Header=BB4_680 Depth=2
	s_and_saveexec_b32 s18, s3
	s_delay_alu instid0(SALU_CYCLE_1)
	s_xor_b32 s18, exec_lo, s18
	s_cbranch_execz .LBB4_745
; %bb.731:                              ;   in Loop: Header=BB4_680 Depth=2
	s_and_saveexec_b32 s27, s6
	s_cbranch_execz .LBB4_744
; %bb.732:                              ;   in Loop: Header=BB4_680 Depth=2
	s_mov_b32 s41, exec_lo
	s_mov_b32 s40, exec_lo
	v_mbcnt_lo_u32_b32 v2, s41, 0
	;;#ASMSTART
	s_waitcnt lgkmcnt(0) vmcnt(0)
	;;#ASMEND
	s_delay_alu instid0(VALU_DEP_1)
	v_cmpx_eq_u32_e32 0, v2
	s_cbranch_execz .LBB4_734
; %bb.733:                              ;   in Loop: Header=BB4_680 Depth=2
	s_bcnt1_i32_b32 s41, s41
	s_delay_alu instid0(SALU_CYCLE_1)
	v_mov_b32_e32 v2, s41
	s_wait_storecnt 0x0
	s_wait_loadcnt_dscnt 0x0
	ds_add_u64 v0, v[2:3]
	s_trap 2
.LBB4_734:                              ;   in Loop: Header=BB4_680 Depth=2
	s_or_b32 exec_lo, exec_lo, s40
	s_trap 2
	ds_load_b64 v[8:9], v0
	s_wait_dscnt 0x0
	v_add_nc_u64_e32 v[12:13], v[12:13], v[32:33]
	s_mov_b32 s40, exec_lo
	s_delay_alu instid0(VALU_DEP_1)
	v_cmpx_lt_u64_e64 v[8:9], v[12:13]
	s_cbranch_execz .LBB4_743
; %bb.735:                              ;   in Loop: Header=BB4_680 Depth=2
	s_mov_b32 s41, 0
	s_mov_b32 s62, 0
                                        ; implicit-def: $sgpr60
                                        ; implicit-def: $sgpr61
	s_branch .LBB4_737
.LBB4_736:                              ;   in Loop: Header=BB4_737 Depth=3
	s_or_b32 exec_lo, exec_lo, s72
	s_delay_alu instid0(SALU_CYCLE_1) | instskip(NEXT) | instid1(SALU_CYCLE_1)
	s_and_b32 s63, exec_lo, s73
	s_or_b32 s41, s63, s41
	s_and_not1_b32 s60, s60, exec_lo
	s_and_b32 s63, s61, exec_lo
	s_delay_alu instid0(SALU_CYCLE_1)
	s_or_b32 s60, s60, s63
	s_and_not1_b32 exec_lo, exec_lo, s41
	s_cbranch_execz .LBB4_741
.LBB4_737:                              ;   Parent Loop BB4_47 Depth=1
                                        ;     Parent Loop BB4_680 Depth=2
                                        ; =>    This Inner Loop Header: Depth=3
	s_add_co_i32 s62, s62, 1
	s_delay_alu instid0(SALU_CYCLE_1) | instskip(SKIP_1) | instid1(SALU_CYCLE_1)
	s_cmp_lg_u32 s62, 0x2710
	s_cselect_b32 s63, -1, 0
	s_and_b32 vcc_lo, exec_lo, s63
	s_cbranch_vccz .LBB4_739
; %bb.738:                              ;   in Loop: Header=BB4_737 Depth=3
	s_mov_b32 s73, -1
	s_or_b32 s61, s61, exec_lo
	s_and_saveexec_b32 s72, s63
	s_cbranch_execz .LBB4_736
	s_branch .LBB4_740
.LBB4_739:                              ;   in Loop: Header=BB4_737 Depth=3
	s_trap 2
	ds_load_b64 v[8:9], v0
	s_and_not1_b32 s63, s63, exec_lo
	s_mov_b32 s62, 0
	s_wait_storecnt 0x0
	s_wait_loadcnt_dscnt 0x0
	flat_load_b32 v2, v[8:9] scope:SCOPE_SYS
	s_wait_loadcnt_dscnt 0x0
	global_inv scope:SCOPE_SYS
	v_cmp_eq_u32_e32 vcc_lo, 0, v2
	s_and_b32 s72, vcc_lo, exec_lo
	s_delay_alu instid0(SALU_CYCLE_1)
	s_or_b32 s63, s63, s72
	s_mov_b32 s73, -1
	s_or_b32 s61, s61, exec_lo
	s_and_saveexec_b32 s72, s63
	s_cbranch_execz .LBB4_736
.LBB4_740:                              ;   in Loop: Header=BB4_737 Depth=3
	s_sleep 1
	s_trap 2
	ds_load_b64 v[8:9], v0
	s_wait_dscnt 0x0
	s_and_not1_b32 s61, s61, exec_lo
	v_cmp_ge_u64_e32 vcc_lo, v[8:9], v[12:13]
	s_or_not1_b32 s73, vcc_lo, exec_lo
	s_branch .LBB4_736
.LBB4_741:                              ;   in Loop: Header=BB4_680 Depth=2
	s_or_b32 exec_lo, exec_lo, s41
	s_and_saveexec_b32 s41, s60
	s_delay_alu instid0(SALU_CYCLE_1)
	s_xor_b32 s41, exec_lo, s41
	s_cbranch_execz .LBB4_743
; %bb.742:                              ;   in Loop: Header=BB4_680 Depth=2
	ds_store_b32 v0, v57
	s_trap 2
.LBB4_743:                              ;   in Loop: Header=BB4_680 Depth=2
	s_or_b32 exec_lo, exec_lo, s40
	;;#ASMSTART
	s_wakeup
	;;#ASMEND
.LBB4_744:                              ;   in Loop: Header=BB4_680 Depth=2
	s_or_b32 exec_lo, exec_lo, s27
.LBB4_745:                              ;   in Loop: Header=BB4_680 Depth=2
	s_and_not1_saveexec_b32 s18, s18
	s_cbranch_execz .LBB4_747
; %bb.746:                              ;   in Loop: Header=BB4_680 Depth=2
	;;#ASMSTART
	s_waitcnt lgkmcnt(0) vmcnt(0)
	;;#ASMEND
	s_barrier_signal -1
	s_barrier_wait -1
.LBB4_747:                              ;   in Loop: Header=BB4_680 Depth=2
	s_or_b32 exec_lo, exec_lo, s18
	v_and_b32_e32 v2, 16, v30
.LBB4_748:                              ;   in Loop: Header=BB4_680 Depth=2
	s_or_b32 exec_lo, exec_lo, s13
	s_delay_alu instid0(VALU_DEP_1) | instskip(SKIP_1) | instid1(SALU_CYCLE_1)
	v_cmp_ne_u32_e32 vcc_lo, 0, v2
	s_xor_b32 s13, s4, -1
	s_and_b32 s18, vcc_lo, s13
	s_delay_alu instid0(SALU_CYCLE_1)
	s_and_saveexec_b32 s13, s18
	s_cbranch_execz .LBB4_750
; %bb.749:                              ;   in Loop: Header=BB4_680 Depth=2
	global_wb scope:SCOPE_SYS
	s_wait_storecnt 0x0
	s_wait_loadcnt_dscnt 0x0
	flat_store_b32 v[26:27], v57 scope:SCOPE_SYS
.LBB4_750:                              ;   in Loop: Header=BB4_680 Depth=2
	s_wait_xcnt 0x0
	s_or_b32 exec_lo, exec_lo, s13
	v_and_b32_e32 v2, 48, v30
	s_mov_b32 s13, exec_lo
	s_delay_alu instid0(VALU_DEP_1)
	v_cmpx_ne_u32_e32 0, v2
	s_cbranch_execz .LBB4_679
; %bb.751:                              ;   in Loop: Header=BB4_680 Depth=2
	v_add_nc_u64_e32 v[86:87], 2, v[86:87]
	global_wb scope:SCOPE_SYS
	s_wait_storecnt 0x0
	s_wait_loadcnt_dscnt 0x0
	flat_store_b64 v[20:21], v[86:87] scope:SCOPE_SYS
	s_branch .LBB4_679
.LBB4_752:                              ;   in Loop: Header=BB4_47 Depth=1
	s_or_b32 exec_lo, exec_lo, s15
.LBB4_753:                              ;   in Loop: Header=BB4_47 Depth=1
	s_delay_alu instid0(SALU_CYCLE_1) | instskip(NEXT) | instid1(SALU_CYCLE_1)
	s_or_b32 exec_lo, exec_lo, s14
	s_and_not1_b32 vcc_lo, exec_lo, s46
	s_cbranch_vccnz .LBB4_1014
; %bb.754:                              ;   in Loop: Header=BB4_47 Depth=1
	s_mov_b32 s18, 1
.LBB4_755:                              ;   Parent Loop BB4_47 Depth=1
                                        ; =>  This Loop Header: Depth=2
                                        ;       Child Loop BB4_758 Depth 3
                                        ;         Child Loop BB4_766 Depth 4
                                        ;         Child Loop BB4_794 Depth 4
	;; [unrolled: 1-line block ×5, first 2 shown]
                                        ;           Child Loop BB4_846 Depth 5
                                        ;         Child Loop BB4_855 Depth 4
                                        ;         Child Loop BB4_860 Depth 4
                                        ;           Child Loop BB4_861 Depth 5
                                        ;         Child Loop BB4_873 Depth 4
                                        ;         Child Loop BB4_878 Depth 4
	;; [unrolled: 1-line block ×6, first 2 shown]
                                        ;       Child Loop BB4_939 Depth 3
                                        ;         Child Loop BB4_945 Depth 4
                                        ;         Child Loop BB4_973 Depth 4
	;; [unrolled: 1-line block ×3, first 2 shown]
	s_delay_alu instid0(SALU_CYCLE_1) | instskip(SKIP_4) | instid1(SALU_CYCLE_1)
	s_sub_co_i32 s13, s44, s18
	s_mov_b32 s60, 0
	s_cmp_ge_i32 s13, s16
	v_mov_b32_e32 v102, 0
	s_cselect_b32 s14, s16, 0
	s_sub_co_i32 s14, s13, s14
	s_delay_alu instid0(SALU_CYCLE_1) | instskip(NEXT) | instid1(SALU_CYCLE_1)
	s_ashr_i32 s15, s14, 31
	v_mul_u64_e32 v[8:9], s[14:15], v[84:85]
	s_delay_alu instid0(VALU_DEP_1) | instskip(NEXT) | instid1(VALU_DEP_1)
	v_sub_nc_u64_e32 v[10:11], v[96:97], v[8:9]
	v_min_i64 v[10:11], v[84:85], v[10:11]
	s_delay_alu instid0(VALU_DEP_1) | instskip(SKIP_1) | instid1(VALU_DEP_2)
	v_max_i32_e32 v46, 0, v10
	v_cmp_lt_i32_e32 vcc_lo, 0, v10
	v_add_nc_u32_e32 v2, 31, v46
	s_and_b32 s13, s57, vcc_lo
	s_delay_alu instid0(VALU_DEP_1) | instskip(NEXT) | instid1(VALU_DEP_1)
	v_lshrrev_b32_e32 v2, 1, v2
	v_and_b32_e32 v11, 0x3ffffff0, v2
	s_delay_alu instid0(VALU_DEP_1)
	v_dual_mov_b32 v2, 0 :: v_dual_max_i32 v100, s45, v11
	s_and_saveexec_b32 s27, s13
	s_cbranch_execz .LBB4_936
; %bb.756:                              ;   in Loop: Header=BB4_755 Depth=2
	v_add_nc_u64_e32 v[8:9], v[8:9], v[98:99]
	v_mov_b32_e32 v102, 0
	s_mov_b32 s62, 1
	s_mov_b32 s61, -1
	s_delay_alu instid0(VALU_DEP_2)
	v_lshlrev_b64_e32 v[112:113], 2, v[8:9]
	s_branch .LBB4_758
.LBB4_757:                              ;   in Loop: Header=BB4_758 Depth=3
	s_wait_xcnt 0x0
	s_or_b32 exec_lo, exec_lo, s13
	v_dual_add_nc_u32 v102, v100, v102 :: v_dual_mov_b32 v2, s62
	s_xor_b32 s13, s61, -1
	s_mov_b32 s61, 0
	s_mov_b32 s62, 2
	s_delay_alu instid0(VALU_DEP_1) | instskip(SKIP_1) | instid1(SALU_CYCLE_1)
	v_cmp_ge_i32_e32 vcc_lo, v102, v46
	s_or_b32 s13, s13, vcc_lo
	s_and_b32 s13, exec_lo, s13
	s_delay_alu instid0(SALU_CYCLE_1) | instskip(NEXT) | instid1(SALU_CYCLE_1)
	s_or_b32 s60, s13, s60
	s_and_not1_b32 exec_lo, exec_lo, s60
	s_cbranch_execz .LBB4_935
.LBB4_758:                              ;   Parent Loop BB4_47 Depth=1
                                        ;     Parent Loop BB4_755 Depth=2
                                        ; =>    This Loop Header: Depth=3
                                        ;         Child Loop BB4_766 Depth 4
                                        ;         Child Loop BB4_794 Depth 4
	;; [unrolled: 1-line block ×5, first 2 shown]
                                        ;           Child Loop BB4_846 Depth 5
                                        ;         Child Loop BB4_855 Depth 4
                                        ;         Child Loop BB4_860 Depth 4
                                        ;           Child Loop BB4_861 Depth 5
                                        ;         Child Loop BB4_873 Depth 4
                                        ;         Child Loop BB4_878 Depth 4
	;; [unrolled: 1-line block ×6, first 2 shown]
	s_and_saveexec_b32 s13, s0
	s_cbranch_execz .LBB4_760
; %bb.759:                              ;   in Loop: Header=BB4_758 Depth=3
	s_trap 2
	ds_load_b128 v[8:11], v0
	s_wait_dscnt 0x0
	v_cmp_ne_u64_e32 vcc_lo, 0, v[10:11]
	v_ashrrev_i32_e32 v103, 31, v102
	v_add_nc_u64_e32 v[116:117], v[10:11], v[112:113]
	v_add_nc_u64_e32 v[8:9], v[8:9], v[112:113]
	s_delay_alu instid0(VALU_DEP_3) | instskip(NEXT) | instid1(VALU_DEP_1)
	v_lshlrev_b64_e32 v[114:115], 2, v[102:103]
	v_add_nc_u64_e32 v[116:117], v[116:117], v[114:115]
	s_delay_alu instid0(VALU_DEP_3) | instskip(NEXT) | instid1(VALU_DEP_2)
	v_add_nc_u64_e32 v[8:9], v[8:9], v[114:115]
	v_dual_cndmask_b32 v11, 0, v117 :: v_dual_cndmask_b32 v10, 0, v116
	ds_store_b64 v0, v[8:9]
	ds_store_b64 v0, v[10:11]
.LBB4_760:                              ;   in Loop: Header=BB4_758 Depth=3
	s_or_b32 exec_lo, exec_lo, s13
	v_sub_nc_u32_e32 v2, v46, v102
	v_and_b32_e32 v8, 12, v30
	s_mov_b32 s14, exec_lo
	s_delay_alu instid0(VALU_DEP_2) | instskip(NEXT) | instid1(VALU_DEP_2)
	v_min_i32_e32 v100, v100, v2
	v_cmpx_ne_u32_e32 0, v8
	s_cbranch_execz .LBB4_786
; %bb.761:                              ;   in Loop: Header=BB4_758 Depth=3
	v_and_b32_e32 v2, 8, v30
	v_add_nc_u64_e32 v[8:9], 2, v[86:87]
	s_mov_b32 s15, exec_lo
	s_wait_loadcnt_dscnt 0x1
	s_delay_alu instid0(VALU_DEP_2) | instskip(NEXT) | instid1(VALU_DEP_1)
	v_add_nc_u64_e32 v[10:11], v[28:29], v[2:3]
	v_cmpx_lt_u64_e64 v[10:11], v[8:9]
	s_cbranch_execz .LBB4_773
; %bb.762:                              ;   in Loop: Header=BB4_758 Depth=3
	v_and_b32_e32 v10, 64, v30
	s_mov_b32 s40, 0
	s_mov_b32 s73, 0
                                        ; implicit-def: $sgpr41
                                        ; implicit-def: $sgpr63
                                        ; implicit-def: $sgpr72
	s_delay_alu instid0(VALU_DEP_1)
	v_cmp_eq_u32_e32 vcc_lo, 0, v10
	s_branch .LBB4_766
.LBB4_763:                              ;   in Loop: Header=BB4_766 Depth=4
	s_wait_loadcnt_dscnt 0x0
	v_add_nc_u64_e32 v[114:115], v[28:29], v[2:3]
	s_or_b32 s76, s76, exec_lo
	s_delay_alu instid0(VALU_DEP_1)
	v_cmp_ge_u64_e64 s13, v[114:115], v[8:9]
	s_or_not1_b32 s75, s13, exec_lo
.LBB4_764:                              ;   in Loop: Header=BB4_766 Depth=4
	s_or_b32 exec_lo, exec_lo, s78
	s_delay_alu instid0(SALU_CYCLE_1)
	s_and_not1_b32 s13, s72, exec_lo
	s_and_b32 s72, s76, exec_lo
	s_and_not1_b32 s63, s63, exec_lo
	s_and_b32 s75, s75, exec_lo
	s_or_b32 s72, s13, s72
	s_or_b32 s63, s63, s75
.LBB4_765:                              ;   in Loop: Header=BB4_766 Depth=4
	s_or_b32 exec_lo, exec_lo, s74
	s_delay_alu instid0(SALU_CYCLE_1) | instskip(NEXT) | instid1(SALU_CYCLE_1)
	s_and_b32 s13, exec_lo, s63
	s_or_b32 s40, s13, s40
	s_and_not1_b32 s13, s41, exec_lo
	s_and_b32 s41, s72, exec_lo
	s_delay_alu instid0(SALU_CYCLE_1)
	s_or_b32 s41, s13, s41
	s_and_not1_b32 exec_lo, exec_lo, s40
	s_cbranch_execz .LBB4_770
.LBB4_766:                              ;   Parent Loop BB4_47 Depth=1
                                        ;     Parent Loop BB4_755 Depth=2
                                        ;       Parent Loop BB4_758 Depth=3
                                        ; =>      This Inner Loop Header: Depth=4
	s_sleep 1
	s_wait_loadcnt_dscnt 0x0
	flat_load_b64 v[28:29], v[20:21] scope:SCOPE_SYS
	s_or_b32 s72, s72, exec_lo
	s_or_b32 s63, s63, exec_lo
                                        ; implicit-def: $vgpr10
	s_wait_xcnt 0x0
	s_and_saveexec_b32 s74, vcc_lo
	s_cbranch_execz .LBB4_765
; %bb.767:                              ;   in Loop: Header=BB4_766 Depth=4
	s_cmp_lt_i32 s73, 0x270f
	s_mov_b32 s75, -1
	s_cselect_b32 s77, -1, 0
	s_cmp_gt_i32 s73, 0x270e
	s_cbranch_scc0 .LBB4_769
; %bb.768:                              ;   in Loop: Header=BB4_766 Depth=4
	s_trap 2
	ds_load_b64 v[10:11], v0
	s_and_not1_b32 s73, s77, exec_lo
	s_mov_b32 s76, 0
	s_wait_storecnt 0x0
	s_wait_loadcnt_dscnt 0x0
	flat_load_b32 v10, v[10:11] scope:SCOPE_SYS
	s_wait_loadcnt_dscnt 0x0
	global_inv scope:SCOPE_SYS
	v_cmp_eq_u32_e64 s13, 0, v10
	s_and_b32 s13, s13, exec_lo
	s_delay_alu instid0(SALU_CYCLE_1)
	s_or_b32 s77, s73, s13
	s_mov_b32 s73, 0
	s_and_saveexec_b32 s78, s77
	s_cbranch_execz .LBB4_764
	s_branch .LBB4_763
.LBB4_769:                              ;   in Loop: Header=BB4_766 Depth=4
	s_add_co_i32 s73, s73, 1
	s_mov_b32 s76, -1
                                        ; implicit-def: $vgpr10
	s_and_saveexec_b32 s78, s77
	s_cbranch_execz .LBB4_764
	s_branch .LBB4_763
.LBB4_770:                              ;   in Loop: Header=BB4_758 Depth=3
	s_or_b32 exec_lo, exec_lo, s40
	s_xor_b32 s13, s41, -1
	s_delay_alu instid0(SALU_CYCLE_1) | instskip(NEXT) | instid1(SALU_CYCLE_1)
	s_and_saveexec_b32 s40, s13
	s_xor_b32 s13, exec_lo, s40
	s_cbranch_execz .LBB4_772
; %bb.771:                              ;   in Loop: Header=BB4_758 Depth=3
	v_or_b32_e32 v30, 64, v30
	s_wait_storecnt 0x0
	s_wait_loadcnt_dscnt 0x0
	ds_store_b32 v0, v10
	s_trap 2
.LBB4_772:                              ;   in Loop: Header=BB4_758 Depth=3
	s_or_b32 exec_lo, exec_lo, s13
.LBB4_773:                              ;   in Loop: Header=BB4_758 Depth=3
	s_delay_alu instid0(SALU_CYCLE_1) | instskip(SKIP_2) | instid1(VALU_DEP_1)
	s_or_b32 exec_lo, exec_lo, s15
	v_and_b32_e32 v10, 0x108, v30
	;;#ASMSTART
	s_wakeup
	;;#ASMEND
	v_cmp_ne_u32_e32 vcc_lo, 0x108, v10
                                        ; implicit-def: $vgpr10_vgpr11
	s_and_saveexec_b32 s13, vcc_lo
	s_delay_alu instid0(SALU_CYCLE_1)
	s_xor_b32 s13, exec_lo, s13
; %bb.774:                              ;   in Loop: Header=BB4_758 Depth=3
	v_dual_mov_b32 v11, v3 :: v_dual_bitop2_b32 v10, 7, v86 bitop3:0x40
                                        ; implicit-def: $vgpr86_vgpr87
; %bb.775:                              ;   in Loop: Header=BB4_758 Depth=3
	s_and_not1_saveexec_b32 s13, s13
	s_cbranch_execz .LBB4_777
; %bb.776:                              ;   in Loop: Header=BB4_758 Depth=3
	v_dual_ashrrev_i32 v101, 31, v100 :: v_dual_bitop2_b32 v10, 7, v86 bitop3:0x40
	v_mov_b32_e32 v11, v3
	s_delay_alu instid0(VALU_DEP_2) | instskip(NEXT) | instid1(VALU_DEP_3)
	v_mad_nc_u64_u32 v[86:87], v10, 24, v[6:7]
	v_lshlrev_b64_e32 v[114:115], 2, v[100:101]
	flat_store_b64 v[86:87], v[114:115] offset:8
.LBB4_777:                              ;   in Loop: Header=BB4_758 Depth=3
	s_wait_xcnt 0x0
	s_or_b32 exec_lo, exec_lo, s13
	v_and_b32_e32 v86, 0x100, v30
	s_mov_b32 s13, -1
	s_delay_alu instid0(VALU_DEP_1)
	v_cmp_ne_u32_e32 vcc_lo, 0, v86
                                        ; implicit-def: $vgpr86_vgpr87
	s_and_saveexec_b32 s15, vcc_lo
	s_cbranch_execz .LBB4_781
; %bb.778:                              ;   in Loop: Header=BB4_758 Depth=3
	v_mad_nc_u64_u32 v[114:115], v10, 24, v[6:7]
	s_delay_alu instid0(VALU_DEP_1)
	v_mad_u32 v115, v11, 24, v115
	flat_load_b32 v86, v[114:115]
	s_wait_loadcnt_dscnt 0x0
	v_cmp_eq_u32_e64 s13, 1, v86
	v_cmp_ne_u32_e32 vcc_lo, 1, v86
                                        ; implicit-def: $vgpr86_vgpr87
	s_wait_xcnt 0x0
	s_and_saveexec_b32 s40, s13
	s_cbranch_execz .LBB4_780
; %bb.779:                              ;   in Loop: Header=BB4_758 Depth=3
	flat_load_b32 v86, v[114:115] offset:4 scope:SCOPE_SYS
	s_wait_loadcnt_dscnt 0x0
	v_ashrrev_i32_e32 v87, 31, v86
	s_delay_alu instid0(VALU_DEP_1)
	v_lshrrev_b64 v[86:87], 2, v[86:87]
.LBB4_780:                              ;   in Loop: Header=BB4_758 Depth=3
	s_wait_xcnt 0x0
	s_or_b32 exec_lo, exec_lo, s40
	s_delay_alu instid0(SALU_CYCLE_1)
	s_or_not1_b32 s13, vcc_lo, exec_lo
.LBB4_781:                              ;   in Loop: Header=BB4_758 Depth=3
	s_or_b32 exec_lo, exec_lo, s15
	s_and_saveexec_b32 s15, s13
; %bb.782:                              ;   in Loop: Header=BB4_758 Depth=3
	v_mul_u64_e32 v[86:87], v[10:11], v[22:23]
; %bb.783:                              ;   in Loop: Header=BB4_758 Depth=3
	s_or_b32 exec_lo, exec_lo, s15
	v_cmp_eq_u32_e32 vcc_lo, 0, v2
	v_and_b32_e32 v101, 0x2000, v30
	s_delay_alu instid0(VALU_DEP_3) | instskip(SKIP_2) | instid1(VALU_DEP_1)
	v_lshl_add_u64 v[10:11], v[86:87], 2, v[24:25]
	s_mov_b32 s13, exec_lo
	v_cndmask_b32_e32 v2, 0xd0, v59, vcc_lo
	v_add_nc_u32_e32 v2, v0, v2
	ds_store_b64 v2, v[10:11] offset:584
	v_cmpx_ne_u32_e32 0, v101
	s_cbranch_execz .LBB4_785
; %bb.784:                              ;   in Loop: Header=BB4_758 Depth=3
	ds_load_b64 v[10:11], v0 offset:872
	s_wait_dscnt 0x0
	v_add_nc_u64_e32 v[10:11], 1, v[10:11]
	ds_store_b64 v0, v[10:11] offset:872
.LBB4_785:                              ;   in Loop: Header=BB4_758 Depth=3
	s_or_b32 exec_lo, exec_lo, s13
	v_mov_b64_e32 v[86:87], v[8:9]
.LBB4_786:                              ;   in Loop: Header=BB4_758 Depth=3
	s_or_b32 exec_lo, exec_lo, s14
	s_and_saveexec_b32 s13, s2
	s_cbranch_execz .LBB4_805
; %bb.787:                              ;   in Loop: Header=BB4_758 Depth=3
	s_and_saveexec_b32 s14, s3
	s_delay_alu instid0(SALU_CYCLE_1)
	s_xor_b32 s14, exec_lo, s14
	s_cbranch_execz .LBB4_802
; %bb.788:                              ;   in Loop: Header=BB4_758 Depth=3
	s_and_saveexec_b32 s15, s6
	s_cbranch_execz .LBB4_801
; %bb.789:                              ;   in Loop: Header=BB4_758 Depth=3
	s_mov_b32 s41, exec_lo
	s_mov_b32 s40, exec_lo
	v_mbcnt_lo_u32_b32 v2, s41, 0
	global_wb scope:SCOPE_DEV
	s_wait_storecnt 0x0
	s_wait_loadcnt_dscnt 0x0
	global_inv scope:SCOPE_DEV
	v_cmpx_eq_u32_e32 0, v2
	s_cbranch_execz .LBB4_791
; %bb.790:                              ;   in Loop: Header=BB4_758 Depth=3
	s_bcnt1_i32_b32 s41, s41
	s_delay_alu instid0(SALU_CYCLE_1)
	v_mov_b32_e32 v2, s41
	s_wait_loadcnt 0x0
	ds_add_u64 v0, v[2:3]
	s_trap 2
.LBB4_791:                              ;   in Loop: Header=BB4_758 Depth=3
	s_or_b32 exec_lo, exec_lo, s40
	s_trap 2
	ds_load_b64 v[8:9], v0
	s_wait_dscnt 0x0
	v_add_nc_u64_e32 v[12:13], v[12:13], v[32:33]
	s_mov_b32 s40, exec_lo
	s_delay_alu instid0(VALU_DEP_1)
	v_cmpx_lt_u64_e64 v[8:9], v[12:13]
	s_cbranch_execz .LBB4_800
; %bb.792:                              ;   in Loop: Header=BB4_758 Depth=3
	s_mov_b32 s41, 0
	s_mov_b32 s73, 0
                                        ; implicit-def: $sgpr63
                                        ; implicit-def: $sgpr72
	s_branch .LBB4_794
.LBB4_793:                              ;   in Loop: Header=BB4_794 Depth=4
	s_or_b32 exec_lo, exec_lo, s75
	s_delay_alu instid0(SALU_CYCLE_1) | instskip(NEXT) | instid1(SALU_CYCLE_1)
	s_and_b32 s74, exec_lo, s76
	s_or_b32 s41, s74, s41
	s_and_not1_b32 s63, s63, exec_lo
	s_and_b32 s74, s72, exec_lo
	s_delay_alu instid0(SALU_CYCLE_1)
	s_or_b32 s63, s63, s74
	s_and_not1_b32 exec_lo, exec_lo, s41
	s_cbranch_execz .LBB4_798
.LBB4_794:                              ;   Parent Loop BB4_47 Depth=1
                                        ;     Parent Loop BB4_755 Depth=2
                                        ;       Parent Loop BB4_758 Depth=3
                                        ; =>      This Inner Loop Header: Depth=4
	s_add_co_i32 s73, s73, 1
	s_delay_alu instid0(SALU_CYCLE_1) | instskip(SKIP_1) | instid1(SALU_CYCLE_1)
	s_cmp_lg_u32 s73, 0x2710
	s_cselect_b32 s74, -1, 0
	s_and_b32 vcc_lo, exec_lo, s74
	s_cbranch_vccz .LBB4_796
; %bb.795:                              ;   in Loop: Header=BB4_794 Depth=4
	s_mov_b32 s76, -1
	s_or_b32 s72, s72, exec_lo
	s_and_saveexec_b32 s75, s74
	s_cbranch_execz .LBB4_793
	s_branch .LBB4_797
.LBB4_796:                              ;   in Loop: Header=BB4_794 Depth=4
	s_trap 2
	ds_load_b64 v[8:9], v0
	s_and_not1_b32 s74, s74, exec_lo
	s_mov_b32 s73, 0
	s_wait_loadcnt_dscnt 0x0
	flat_load_b32 v2, v[8:9] scope:SCOPE_SYS
	s_wait_loadcnt_dscnt 0x0
	global_inv scope:SCOPE_SYS
	v_cmp_eq_u32_e32 vcc_lo, 0, v2
	s_and_b32 s75, vcc_lo, exec_lo
	s_delay_alu instid0(SALU_CYCLE_1)
	s_or_b32 s74, s74, s75
	s_mov_b32 s76, -1
	s_or_b32 s72, s72, exec_lo
	s_and_saveexec_b32 s75, s74
	s_cbranch_execz .LBB4_793
.LBB4_797:                              ;   in Loop: Header=BB4_794 Depth=4
	s_sleep 1
	s_trap 2
	ds_load_b64 v[8:9], v0
	s_wait_dscnt 0x0
	s_and_not1_b32 s72, s72, exec_lo
	v_cmp_ge_u64_e32 vcc_lo, v[8:9], v[12:13]
	s_or_not1_b32 s76, vcc_lo, exec_lo
	s_branch .LBB4_793
.LBB4_798:                              ;   in Loop: Header=BB4_758 Depth=3
	s_or_b32 exec_lo, exec_lo, s41
	s_and_saveexec_b32 s41, s63
	s_delay_alu instid0(SALU_CYCLE_1)
	s_xor_b32 s41, exec_lo, s41
	s_cbranch_execz .LBB4_800
; %bb.799:                              ;   in Loop: Header=BB4_758 Depth=3
	ds_store_b32 v0, v57
	s_trap 2
.LBB4_800:                              ;   in Loop: Header=BB4_758 Depth=3
	s_or_b32 exec_lo, exec_lo, s40
	;;#ASMSTART
	s_wakeup
	;;#ASMEND
.LBB4_801:                              ;   in Loop: Header=BB4_758 Depth=3
	s_or_b32 exec_lo, exec_lo, s15
.LBB4_802:                              ;   in Loop: Header=BB4_758 Depth=3
	s_and_not1_saveexec_b32 s14, s14
	s_cbranch_execz .LBB4_804
; %bb.803:                              ;   in Loop: Header=BB4_758 Depth=3
	global_wb scope:SCOPE_DEV
	s_wait_storecnt 0x0
	s_wait_loadcnt_dscnt 0x0
	global_inv scope:SCOPE_DEV
	s_barrier_signal -1
	s_barrier_wait -1
.LBB4_804:                              ;   in Loop: Header=BB4_758 Depth=3
	s_or_b32 exec_lo, exec_lo, s14
.LBB4_805:                              ;   in Loop: Header=BB4_758 Depth=3
	s_delay_alu instid0(SALU_CYCLE_1) | instskip(SKIP_4) | instid1(VALU_DEP_1)
	s_or_b32 exec_lo, exec_lo, s13
	s_trap 2
	ds_load_b32 v8, v0
	v_and_b32_e32 v2, 0x4000, v30
	s_xor_b32 s13, s1, -1
	v_cmp_ne_u32_e32 vcc_lo, 0, v2
	s_and_b32 s14, s13, vcc_lo
	s_delay_alu instid0(SALU_CYCLE_1)
	s_and_saveexec_b32 s13, s14
	s_cbranch_execz .LBB4_824
; %bb.806:                              ;   in Loop: Header=BB4_758 Depth=3
	s_and_saveexec_b32 s14, s3
	s_delay_alu instid0(SALU_CYCLE_1)
	s_xor_b32 s14, exec_lo, s14
	s_cbranch_execz .LBB4_821
; %bb.807:                              ;   in Loop: Header=BB4_758 Depth=3
	s_and_saveexec_b32 s15, s6
	s_cbranch_execz .LBB4_820
; %bb.808:                              ;   in Loop: Header=BB4_758 Depth=3
	s_mov_b32 s41, exec_lo
	s_mov_b32 s40, exec_lo
	v_mbcnt_lo_u32_b32 v2, s41, 0
	global_wb scope:SCOPE_DEV
	s_wait_storecnt 0x0
	s_wait_loadcnt_dscnt 0x0
	global_inv scope:SCOPE_DEV
	v_cmpx_eq_u32_e32 0, v2
	s_cbranch_execz .LBB4_810
; %bb.809:                              ;   in Loop: Header=BB4_758 Depth=3
	s_bcnt1_i32_b32 s41, s41
	s_delay_alu instid0(SALU_CYCLE_1)
	v_mov_b32_e32 v2, s41
	s_wait_loadcnt 0x0
	ds_add_u64 v0, v[2:3]
	s_trap 2
.LBB4_810:                              ;   in Loop: Header=BB4_758 Depth=3
	s_or_b32 exec_lo, exec_lo, s40
	s_trap 2
	ds_load_b64 v[10:11], v0
	s_wait_dscnt 0x0
	v_add_nc_u64_e32 v[12:13], v[12:13], v[32:33]
	s_mov_b32 s40, exec_lo
	s_delay_alu instid0(VALU_DEP_1)
	v_cmpx_lt_u64_e64 v[10:11], v[12:13]
	s_cbranch_execz .LBB4_819
; %bb.811:                              ;   in Loop: Header=BB4_758 Depth=3
	s_mov_b32 s41, 0
	s_mov_b32 s73, 0
                                        ; implicit-def: $sgpr63
                                        ; implicit-def: $sgpr72
	s_branch .LBB4_813
.LBB4_812:                              ;   in Loop: Header=BB4_813 Depth=4
	s_or_b32 exec_lo, exec_lo, s75
	s_delay_alu instid0(SALU_CYCLE_1) | instskip(NEXT) | instid1(SALU_CYCLE_1)
	s_and_b32 s74, exec_lo, s76
	s_or_b32 s41, s74, s41
	s_and_not1_b32 s63, s63, exec_lo
	s_and_b32 s74, s72, exec_lo
	s_delay_alu instid0(SALU_CYCLE_1)
	s_or_b32 s63, s63, s74
	s_and_not1_b32 exec_lo, exec_lo, s41
	s_cbranch_execz .LBB4_817
.LBB4_813:                              ;   Parent Loop BB4_47 Depth=1
                                        ;     Parent Loop BB4_755 Depth=2
                                        ;       Parent Loop BB4_758 Depth=3
                                        ; =>      This Inner Loop Header: Depth=4
	s_add_co_i32 s73, s73, 1
	s_delay_alu instid0(SALU_CYCLE_1) | instskip(SKIP_1) | instid1(SALU_CYCLE_1)
	s_cmp_lg_u32 s73, 0x2710
	s_cselect_b32 s74, -1, 0
	s_and_b32 vcc_lo, exec_lo, s74
	s_cbranch_vccz .LBB4_815
; %bb.814:                              ;   in Loop: Header=BB4_813 Depth=4
	s_mov_b32 s76, -1
	s_or_b32 s72, s72, exec_lo
	s_and_saveexec_b32 s75, s74
	s_cbranch_execz .LBB4_812
	s_branch .LBB4_816
.LBB4_815:                              ;   in Loop: Header=BB4_813 Depth=4
	s_trap 2
	ds_load_b64 v[10:11], v0
	s_and_not1_b32 s74, s74, exec_lo
	s_mov_b32 s73, 0
	s_wait_loadcnt_dscnt 0x0
	flat_load_b32 v2, v[10:11] scope:SCOPE_SYS
	s_wait_loadcnt_dscnt 0x0
	global_inv scope:SCOPE_SYS
	v_cmp_eq_u32_e32 vcc_lo, 0, v2
	s_and_b32 s75, vcc_lo, exec_lo
	s_delay_alu instid0(SALU_CYCLE_1)
	s_or_b32 s74, s74, s75
	s_mov_b32 s76, -1
	s_or_b32 s72, s72, exec_lo
	s_and_saveexec_b32 s75, s74
	s_cbranch_execz .LBB4_812
.LBB4_816:                              ;   in Loop: Header=BB4_813 Depth=4
	s_sleep 1
	s_trap 2
	ds_load_b64 v[10:11], v0
	s_wait_dscnt 0x0
	s_and_not1_b32 s72, s72, exec_lo
	v_cmp_ge_u64_e32 vcc_lo, v[10:11], v[12:13]
	s_or_not1_b32 s76, vcc_lo, exec_lo
	s_branch .LBB4_812
.LBB4_817:                              ;   in Loop: Header=BB4_758 Depth=3
	s_or_b32 exec_lo, exec_lo, s41
	s_and_saveexec_b32 s41, s63
	s_delay_alu instid0(SALU_CYCLE_1)
	s_xor_b32 s41, exec_lo, s41
	s_cbranch_execz .LBB4_819
; %bb.818:                              ;   in Loop: Header=BB4_758 Depth=3
	ds_store_b32 v0, v57
	s_trap 2
.LBB4_819:                              ;   in Loop: Header=BB4_758 Depth=3
	s_or_b32 exec_lo, exec_lo, s40
	;;#ASMSTART
	s_wakeup
	;;#ASMEND
.LBB4_820:                              ;   in Loop: Header=BB4_758 Depth=3
	s_or_b32 exec_lo, exec_lo, s15
.LBB4_821:                              ;   in Loop: Header=BB4_758 Depth=3
	s_and_not1_saveexec_b32 s14, s14
	s_cbranch_execz .LBB4_823
; %bb.822:                              ;   in Loop: Header=BB4_758 Depth=3
	global_wb scope:SCOPE_DEV
	s_wait_storecnt 0x0
	s_wait_loadcnt_dscnt 0x0
	global_inv scope:SCOPE_DEV
	s_barrier_signal -1
	s_barrier_wait -1
.LBB4_823:                              ;   in Loop: Header=BB4_758 Depth=3
	s_or_b32 exec_lo, exec_lo, s14
.LBB4_824:                              ;   in Loop: Header=BB4_758 Depth=3
	s_delay_alu instid0(SALU_CYCLE_1)
	s_or_b32 exec_lo, exec_lo, s13
	s_trap 2
	ds_load_b64 v[114:115], v0
	s_wait_dscnt 0x0
	v_cmp_eq_u64_e32 vcc_lo, 0, v[114:115]
	s_cbranch_vccnz .LBB4_833
; %bb.825:                              ;   in Loop: Header=BB4_758 Depth=3
	s_trap 2
	ds_load_b64 v[116:117], v0
	s_wait_dscnt 0x0
	v_cmp_eq_u64_e32 vcc_lo, 0, v[116:117]
	s_cbranch_vccnz .LBB4_833
; %bb.826:                              ;   in Loop: Header=BB4_758 Depth=3
	s_trap 2
	ds_load_b64 v[118:119], v0
	v_cmp_eq_u32_e32 vcc_lo, 0, v8
	s_mov_b32 s13, -1
	v_cndmask_b32_e32 v2, 0, v100, vcc_lo
	s_delay_alu instid0(VALU_DEP_1)
	v_lshlrev_b32_e32 v101, 2, v2
	s_wait_dscnt 0x0
	v_cmp_ne_u64_e32 vcc_lo, 0, v[118:119]
	s_cbranch_vccz .LBB4_864
; %bb.827:                              ;   in Loop: Header=BB4_758 Depth=3
	s_and_saveexec_b32 s14, s11
	s_cbranch_execz .LBB4_829
; %bb.828:                              ;   in Loop: Header=BB4_758 Depth=3
	ds_load_b32 v8, v0 offset:720
	s_wait_dscnt 0x0
	v_and_b32_e32 v8, 15, v8
	s_delay_alu instid0(VALU_DEP_1)
	v_cmp_eq_u32_e32 vcc_lo, 0, v8
	s_or_not1_b32 s13, vcc_lo, exec_lo
.LBB4_829:                              ;   in Loop: Header=BB4_758 Depth=3
	s_or_b32 exec_lo, exec_lo, s14
	s_and_saveexec_b32 s14, s12
	s_cbranch_execz .LBB4_831
; %bb.830:                              ;   in Loop: Header=BB4_758 Depth=3
	ds_load_b32 v8, v0 offset:784
	s_wait_dscnt 0x0
	v_and_b32_e32 v8, 15, v8
	s_delay_alu instid0(VALU_DEP_1) | instskip(SKIP_3) | instid1(SALU_CYCLE_1)
	v_cmp_eq_u32_e32 vcc_lo, 0, v8
	s_and_b32 s15, s13, vcc_lo
	s_and_not1_b32 s13, s13, exec_lo
	s_and_b32 s15, s15, exec_lo
	s_or_b32 s13, s13, s15
.LBB4_831:                              ;   in Loop: Header=BB4_758 Depth=3
	s_or_b32 exec_lo, exec_lo, s14
	s_xor_b32 s13, s13, -1
	v_dual_mov_b32 v42, 0 :: v_dual_mov_b32 v103, v101
	v_cndmask_b32_e64 v8, 0, 1, s13
	v_mov_b32_e32 v43, v0
	s_mov_b32 s13, -1
	s_delay_alu instid0(VALU_DEP_2)
	v_cmp_ne_u32_e32 vcc_lo, 0, v8
	v_mov_b32_e32 v8, v60
	s_cbranch_vccz .LBB4_838
; %bb.832:                              ;   in Loop: Header=BB4_758 Depth=3
	s_and_saveexec_b32 s15, s13
	s_cbranch_execnz .LBB4_853
	s_branch .LBB4_863
.LBB4_833:                              ;   in Loop: Header=BB4_758 Depth=3
	s_mov_b32 s13, 0
	s_and_saveexec_b32 s14, s2
	s_cbranch_execnz .LBB4_894
.LBB4_834:                              ;   in Loop: Header=BB4_758 Depth=3
	s_or_b32 exec_lo, exec_lo, s14
                                        ; implicit-def: $vgpr2
	s_and_saveexec_b32 s14, s10
	s_delay_alu instid0(SALU_CYCLE_1)
	s_xor_b32 s14, exec_lo, s14
	s_cbranch_execz .LBB4_912
.LBB4_835:                              ;   in Loop: Header=BB4_758 Depth=3
	v_and_b32_e32 v2, 16, v30
	s_delay_alu instid0(VALU_DEP_1) | instskip(SKIP_2) | instid1(SALU_CYCLE_1)
	v_cmp_ne_u32_e32 vcc_lo, 0, v2
	v_and_b32_e32 v2, 16, v30
	s_and_b32 s15, vcc_lo, s13
	s_and_saveexec_b32 s13, s15
	s_cbranch_execz .LBB4_837
; %bb.836:                              ;   in Loop: Header=BB4_758 Depth=3
	v_mov_b32_e32 v2, 1
	global_wb scope:SCOPE_SYS
	s_wait_storecnt 0x0
	s_wait_loadcnt_dscnt 0x0
	global_inv scope:SCOPE_SYS
.LBB4_837:                              ;   in Loop: Header=BB4_758 Depth=3
	s_or_b32 exec_lo, exec_lo, s13
	s_and_not1_saveexec_b32 s13, s14
	s_cbranch_execz .LBB4_931
	s_branch .LBB4_913
.LBB4_838:                              ;   in Loop: Header=BB4_758 Depth=3
	v_ashrrev_i32_e32 v8, 31, v101
	s_mov_b32 s13, exec_lo
	s_delay_alu instid0(VALU_DEP_1) | instskip(NEXT) | instid1(VALU_DEP_1)
	v_lshrrev_b32_e32 v8, 22, v8
	v_add_nc_u32_e32 v8, v101, v8
	s_delay_alu instid0(VALU_DEP_1) | instskip(NEXT) | instid1(VALU_DEP_1)
	v_ashrrev_i32_e32 v103, 10, v8
	v_sub_nc_u32_e32 v44, v103, v60
	s_delay_alu instid0(VALU_DEP_1)
	v_cmpx_lt_i32_e32 0, v44
	s_cbranch_execz .LBB4_842
; %bb.839:                              ;   in Loop: Header=BB4_758 Depth=3
	v_add_nc_u64_e32 v[8:9], v[114:115], v[82:83]
	v_add_nc_u64_e32 v[10:11], v[116:117], v[82:83]
	v_add_nc_u64_e32 v[40:41], v[118:119], v[82:83]
	s_mov_b32 s14, 0
.LBB4_840:                              ;   Parent Loop BB4_47 Depth=1
                                        ;     Parent Loop BB4_755 Depth=2
                                        ;       Parent Loop BB4_758 Depth=3
                                        ; =>      This Inner Loop Header: Depth=4
	s_clause 0x1
	global_load_b128 v[72:75], v[8:9], off th:TH_LOAD_NT
	global_load_b128 v[76:79], v[8:9], off offset:512 th:TH_LOAD_NT
	v_sub_nc_u32_e32 v44, v44, v32
	s_wait_xcnt 0x0
	v_add_nc_u64_e32 v[8:9], v[8:9], v[54:55]
	s_wait_loadcnt 0x1
	global_store_b128 v[10:11], v[72:75], off th:TH_STORE_NT
	s_wait_loadcnt 0x0
	global_store_b128 v[10:11], v[76:79], off offset:512 th:TH_STORE_NT
	s_clause 0x1
	global_store_b128 v[40:41], v[72:75], off th:TH_STORE_NT
	global_store_b128 v[40:41], v[76:79], off offset:512 th:TH_STORE_NT
	v_cmp_gt_i32_e32 vcc_lo, 1, v44
	s_wait_xcnt 0x2
	v_add_nc_u64_e32 v[10:11], v[10:11], v[54:55]
	s_wait_xcnt 0x0
	v_add_nc_u64_e32 v[40:41], v[40:41], v[54:55]
	s_or_b32 s14, vcc_lo, s14
	s_delay_alu instid0(SALU_CYCLE_1)
	s_and_not1_b32 exec_lo, exec_lo, s14
	s_cbranch_execnz .LBB4_840
; %bb.841:                              ;   in Loop: Header=BB4_758 Depth=3
	s_or_b32 exec_lo, exec_lo, s14
.LBB4_842:                              ;   in Loop: Header=BB4_758 Depth=3
	s_delay_alu instid0(SALU_CYCLE_1) | instskip(SKIP_3) | instid1(VALU_DEP_1)
	s_or_b32 exec_lo, exec_lo, s13
	v_dual_mov_b32 v42, 0 :: v_dual_lshlrev_b32 v47, 10, v103
	s_mov_b32 s13, 0
	s_mov_b32 s63, exec_lo
                                        ; implicit-def: $vgpr103
                                        ; implicit-def: $vgpr43
                                        ; implicit-def: $vgpr8
	v_cmpx_ne_u32_e64 v101, v47
	s_cbranch_execz .LBB4_852
; %bb.843:                              ;   in Loop: Header=BB4_758 Depth=3
	v_dual_lshlrev_b32 v8, 5, v44 :: v_dual_sub_nc_u32 v10, v101, v47
	s_mov_b32 s72, exec_lo
	s_delay_alu instid0(VALU_DEP_1) | instskip(NEXT) | instid1(VALU_DEP_1)
	v_dual_sub_nc_u32 v8, v61, v8 :: v_dual_ashrrev_i32 v11, 31, v10
	v_dual_ashrrev_i32 v9, 31, v8 :: v_dual_lshrrev_b32 v11, 23, v11
	s_delay_alu instid0(VALU_DEP_1) | instskip(NEXT) | instid1(VALU_DEP_1)
	v_lshrrev_b32_e32 v9, 27, v9
	v_dual_add_nc_u32 v9, v8, v9 :: v_dual_add_nc_u32 v11, v10, v11
	s_delay_alu instid0(VALU_DEP_1) | instskip(SKIP_1) | instid1(VALU_DEP_3)
	v_and_b32_e32 v103, 0xffffffe0, v9
	v_ashrrev_i32_e32 v9, 5, v9
	v_and_b32_e32 v62, 0xfffffe00, v11
	v_ashrrev_i32_e32 v11, 9, v11
	s_delay_alu instid0(VALU_DEP_2) | instskip(NEXT) | instid1(VALU_DEP_1)
	v_dual_sub_nc_u32 v63, v8, v103 :: v_dual_sub_nc_u32 v72, v10, v62
	v_cmp_lt_i32_e64 s13, 15, v72
	s_delay_alu instid0(VALU_DEP_1) | instskip(NEXT) | instid1(VALU_DEP_1)
	v_add_co_ci_u32_e64 v11, null, 0, v11, s13
	v_dual_lshlrev_b32 v8, 4, v63 :: v_dual_sub_nc_u32 v73, v11, v9
	s_delay_alu instid0(VALU_DEP_1) | instskip(NEXT) | instid1(VALU_DEP_1)
	v_lshl_add_u32 v8, v9, 9, v8
	v_sub_nc_u32_e32 v103, v10, v8
	s_delay_alu instid0(VALU_DEP_1)
	v_cmpx_lt_i32_e32 15, v103
	s_cbranch_execz .LBB4_849
; %bb.844:                              ;   in Loop: Header=BB4_758 Depth=3
	v_add_nc_u32_e32 v8, v8, v47
	s_mov_b32 s73, 0
	s_delay_alu instid0(VALU_DEP_1) | instskip(NEXT) | instid1(VALU_DEP_1)
	v_ashrrev_i32_e32 v9, 31, v8
	v_add_nc_u64_e32 v[40:41], v[8:9], v[114:115]
	v_add_nc_u64_e32 v[42:43], v[8:9], v[116:117]
	;; [unrolled: 1-line block ×3, first 2 shown]
.LBB4_845:                              ;   Parent Loop BB4_47 Depth=1
                                        ;     Parent Loop BB4_755 Depth=2
                                        ;       Parent Loop BB4_758 Depth=3
                                        ; =>      This Loop Header: Depth=4
                                        ;           Child Loop BB4_846 Depth 5
	global_load_b128 v[8:11], v[40:41], off th:TH_LOAD_NT
	s_mov_b64 s[40:41], 0
	s_mov_b32 s74, -1
.LBB4_846:                              ;   Parent Loop BB4_47 Depth=1
                                        ;     Parent Loop BB4_755 Depth=2
                                        ;       Parent Loop BB4_758 Depth=3
                                        ;         Parent Loop BB4_845 Depth=4
                                        ; =>        This Inner Loop Header: Depth=5
	s_cmp_eq_u32 s40, 1
	s_cselect_b32 vcc_lo, -1, 0
	s_cmp_eq_u32 s40, 0
	s_wait_xcnt 0x0
	v_dual_cndmask_b32 v75, v43, v45 :: v_dual_cndmask_b32 v74, v42, v44
	s_cselect_b32 s14, -1, 0
	s_and_b32 s15, exec_lo, s74
	s_mov_b64 s[40:41], 1
	s_mov_b32 s74, 0
	v_add_nc_u64_e32 v[76:77], 0x200, v[74:75]
	s_wait_loadcnt 0x0
	global_store_b128 v[74:75], v[8:11], off th:TH_STORE_NT
	v_dual_cndmask_b32 v45, v45, v77 :: v_dual_cndmask_b32 v44, v44, v76
	v_dual_cndmask_b32 v43, v43, v77, s14 :: v_dual_cndmask_b32 v42, v42, v76, s14
	s_mov_b32 vcc_lo, s15
	s_cbranch_vccnz .LBB4_846
; %bb.847:                              ;   in Loop: Header=BB4_845 Depth=4
	v_dual_sub_nc_u32 v103, v103, v50 :: v_dual_sub_nc_u32 v73, v73, v32
	s_delay_alu instid0(VALU_DEP_2)
	v_add_nc_u64_e32 v[42:43], v[42:43], v[64:65]
	v_add_nc_u64_e32 v[44:45], v[44:45], v[64:65]
	s_wait_xcnt 0x1
	v_add_nc_u64_e32 v[40:41], v[68:69], v[40:41]
	v_cmp_gt_i32_e32 vcc_lo, 16, v103
	s_or_b32 s73, vcc_lo, s73
	s_wait_xcnt 0x0
	s_and_not1_b32 exec_lo, exec_lo, s73
	s_cbranch_execnz .LBB4_845
; %bb.848:                              ;   in Loop: Header=BB4_758 Depth=3
	s_or_b32 exec_lo, exec_lo, s73
.LBB4_849:                              ;   in Loop: Header=BB4_758 Depth=3
	s_delay_alu instid0(SALU_CYCLE_1) | instskip(SKIP_3) | instid1(VALU_DEP_1)
	s_or_b32 exec_lo, exec_lo, s72
	v_dual_mov_b32 v42, 0 :: v_dual_bitop2_b32 v9, 12, v101 bitop3:0x40
	s_mov_b32 s14, 0
	s_mov_b32 s15, exec_lo
                                        ; implicit-def: $vgpr43
                                        ; implicit-def: $vgpr8
	v_cndmask_b32_e64 v103, v72, v9, s13
	s_delay_alu instid0(VALU_DEP_1)
	v_cmpx_ne_u32_e32 0, v103
	s_cbranch_execz .LBB4_851
; %bb.850:                              ;   in Loop: Header=BB4_758 Depth=3
	v_cmp_lt_i32_e32 vcc_lo, 0, v73
	s_mov_b32 s14, exec_lo
	v_dual_cndmask_b32 v8, 0, v32 :: v_dual_sub_nc_u32 v9, v72, v9
	s_delay_alu instid0(VALU_DEP_1) | instskip(NEXT) | instid1(VALU_DEP_2)
	v_cndmask_b32_e64 v9, 0, v9, s13
	v_sub_nc_u32_e32 v8, v8, v73
	s_delay_alu instid0(VALU_DEP_2) | instskip(NEXT) | instid1(VALU_DEP_2)
	v_add3_u32 v42, v62, v47, v9
	v_lshl_add_u32 v43, v8, 5, v63
	s_delay_alu instid0(VALU_DEP_1) | instskip(NEXT) | instid1(VALU_DEP_1)
	v_ashrrev_i32_e32 v8, 31, v43
	v_lshrrev_b32_e32 v8, 27, v8
	s_delay_alu instid0(VALU_DEP_1) | instskip(NEXT) | instid1(VALU_DEP_1)
	v_add_nc_u32_e32 v8, v43, v8
	v_ashrrev_i32_e32 v8, 5, v8
.LBB4_851:                              ;   in Loop: Header=BB4_758 Depth=3
	s_or_b32 exec_lo, exec_lo, s15
	s_delay_alu instid0(SALU_CYCLE_1)
	s_and_b32 s13, s14, exec_lo
.LBB4_852:                              ;   in Loop: Header=BB4_758 Depth=3
	s_or_b32 exec_lo, exec_lo, s63
	s_and_saveexec_b32 s15, s13
	s_cbranch_execz .LBB4_863
.LBB4_853:                              ;   in Loop: Header=BB4_758 Depth=3
	v_ashrrev_i32_e32 v9, 31, v103
	s_mov_b32 s13, exec_lo
	s_delay_alu instid0(VALU_DEP_1) | instskip(NEXT) | instid1(VALU_DEP_1)
	v_lshrrev_b32_e32 v9, 23, v9
	v_add_nc_u32_e32 v9, v103, v9
	s_delay_alu instid0(VALU_DEP_1) | instskip(NEXT) | instid1(VALU_DEP_1)
	v_dual_ashrrev_i32 v47, 9, v9 :: v_dual_ashrrev_i32 v9, 31, v43
	v_dual_sub_nc_u32 v44, v47, v8 :: v_dual_lshrrev_b32 v45, 27, v9
	s_delay_alu instid0(VALU_DEP_1)
	v_cmpx_lt_i32_e32 0, v44
	s_cbranch_execz .LBB4_857
; %bb.854:                              ;   in Loop: Header=BB4_758 Depth=3
	s_delay_alu instid0(VALU_DEP_2) | instskip(SKIP_1) | instid1(VALU_DEP_1)
	v_dual_add_nc_u32 v9, v43, v45 :: v_dual_lshlrev_b32 v8, 9, v8
	s_mov_b32 s14, 0
	v_and_b32_e32 v9, 0x3fffffe0, v9
	s_delay_alu instid0(VALU_DEP_1) | instskip(NEXT) | instid1(VALU_DEP_1)
	v_sub_nc_u32_e32 v9, v43, v9
	v_lshlrev_b32_e32 v9, 2, v9
	s_delay_alu instid0(VALU_DEP_1) | instskip(NEXT) | instid1(VALU_DEP_1)
	v_add3_u32 v40, v9, v42, v8
	v_ashrrev_i32_e32 v41, 31, v40
	s_delay_alu instid0(VALU_DEP_1)
	v_add_nc_u64_e32 v[8:9], v[40:41], v[114:115]
	v_add_nc_u64_e32 v[10:11], v[40:41], v[116:117]
	v_add_nc_u64_e32 v[40:41], v[40:41], v[118:119]
.LBB4_855:                              ;   Parent Loop BB4_47 Depth=1
                                        ;     Parent Loop BB4_755 Depth=2
                                        ;       Parent Loop BB4_758 Depth=3
                                        ; =>      This Inner Loop Header: Depth=4
	s_clause 0x3
	flat_load_b32 v62, v[8:9] th:TH_LOAD_NT
	flat_load_b32 v63, v[8:9] offset:128 th:TH_LOAD_NT
	flat_load_b32 v72, v[8:9] offset:256 th:TH_LOAD_NT
	;; [unrolled: 1-line block ×3, first 2 shown]
	v_sub_nc_u32_e32 v44, v44, v32
	s_wait_xcnt 0x0
	v_add_nc_u64_e32 v[8:9], v[8:9], v[50:51]
	s_wait_loadcnt_dscnt 0x303
	flat_store_b32 v[10:11], v62 th:TH_STORE_NT
	s_wait_loadcnt_dscnt 0x203
	flat_store_b32 v[10:11], v63 offset:128 th:TH_STORE_NT
	s_wait_loadcnt_dscnt 0x103
	flat_store_b32 v[10:11], v72 offset:256 th:TH_STORE_NT
	;; [unrolled: 2-line block ×3, first 2 shown]
	s_clause 0x3
	flat_store_b32 v[40:41], v62 th:TH_STORE_NT
	flat_store_b32 v[40:41], v63 offset:128 th:TH_STORE_NT
	flat_store_b32 v[40:41], v72 offset:256 th:TH_STORE_NT
	;; [unrolled: 1-line block ×3, first 2 shown]
	v_cmp_gt_i32_e32 vcc_lo, 1, v44
	s_wait_xcnt 0x4
	v_add_nc_u64_e32 v[10:11], v[10:11], v[50:51]
	s_wait_xcnt 0x0
	v_add_nc_u64_e32 v[40:41], v[40:41], v[50:51]
	s_or_b32 s14, vcc_lo, s14
	s_delay_alu instid0(SALU_CYCLE_1)
	s_and_not1_b32 exec_lo, exec_lo, s14
	s_cbranch_execnz .LBB4_855
; %bb.856:                              ;   in Loop: Header=BB4_758 Depth=3
	s_or_b32 exec_lo, exec_lo, s14
.LBB4_857:                              ;   in Loop: Header=BB4_758 Depth=3
	s_delay_alu instid0(SALU_CYCLE_1) | instskip(SKIP_1) | instid1(VALU_DEP_1)
	s_or_b32 exec_lo, exec_lo, s13
	v_lshlrev_b32_e32 v8, 9, v47
	v_cmp_ne_u32_e32 vcc_lo, v103, v8
	s_and_b32 exec_lo, exec_lo, vcc_lo
	s_cbranch_execz .LBB4_863
; %bb.858:                              ;   in Loop: Header=BB4_758 Depth=3
	v_dual_add_nc_u32 v9, v43, v45 :: v_dual_lshlrev_b32 v10, 5, v44
	s_delay_alu instid0(VALU_DEP_1) | instskip(NEXT) | instid1(VALU_DEP_1)
	v_and_b32_e32 v9, 0xffffffe0, v9
	v_sub_nc_u32_e32 v9, v43, v9
	s_delay_alu instid0(VALU_DEP_1) | instskip(NEXT) | instid1(VALU_DEP_1)
	v_sub_nc_u32_e32 v9, v9, v10
	v_ashrrev_i32_e32 v10, 31, v9
	s_delay_alu instid0(VALU_DEP_1) | instskip(NEXT) | instid1(VALU_DEP_1)
	v_lshrrev_b32_e32 v10, 27, v10
	v_add_nc_u32_e32 v10, v9, v10
	s_delay_alu instid0(VALU_DEP_1) | instskip(NEXT) | instid1(VALU_DEP_1)
	v_and_b32_e32 v11, 0x3fffffe0, v10
	v_dual_lshlrev_b32 v10, 2, v10 :: v_dual_sub_nc_u32 v9, v9, v11
	s_delay_alu instid0(VALU_DEP_1) | instskip(NEXT) | instid1(VALU_DEP_2)
	v_and_b32_e32 v10, 0xffffff80, v10
	v_lshlrev_b32_e32 v9, 2, v9
	s_delay_alu instid0(VALU_DEP_1) | instskip(NEXT) | instid1(VALU_DEP_1)
	v_add3_u32 v8, v10, v9, v8
	v_sub_nc_u32_e32 v103, v103, v8
	s_delay_alu instid0(VALU_DEP_1)
	v_cmp_lt_i32_e32 vcc_lo, 3, v103
	s_and_b32 exec_lo, exec_lo, vcc_lo
	s_cbranch_execz .LBB4_863
; %bb.859:                              ;   in Loop: Header=BB4_758 Depth=3
	v_add_nc_u32_e32 v40, v8, v42
	s_mov_b32 s63, 0
	s_delay_alu instid0(VALU_DEP_1) | instskip(NEXT) | instid1(VALU_DEP_1)
	v_ashrrev_i32_e32 v41, 31, v40
	v_add_nc_u64_e32 v[8:9], v[40:41], v[114:115]
	v_add_nc_u64_e32 v[10:11], v[40:41], v[116:117]
	;; [unrolled: 1-line block ×3, first 2 shown]
.LBB4_860:                              ;   Parent Loop BB4_47 Depth=1
                                        ;     Parent Loop BB4_755 Depth=2
                                        ;       Parent Loop BB4_758 Depth=3
                                        ; =>      This Loop Header: Depth=4
                                        ;           Child Loop BB4_861 Depth 5
	flat_load_b32 v40, v[8:9] th:TH_LOAD_NT
	s_mov_b64 s[40:41], 0
	s_mov_b32 s72, -1
.LBB4_861:                              ;   Parent Loop BB4_47 Depth=1
                                        ;     Parent Loop BB4_755 Depth=2
                                        ;       Parent Loop BB4_758 Depth=3
                                        ;         Parent Loop BB4_860 Depth=4
                                        ; =>        This Inner Loop Header: Depth=5
	s_cmp_eq_u32 s40, 1
	s_cselect_b32 vcc_lo, -1, 0
	s_cmp_eq_u32 s40, 0
	s_wait_xcnt 0x0
	v_dual_cndmask_b32 v43, v11, v119 :: v_dual_cndmask_b32 v42, v10, v118
	s_cselect_b32 s13, -1, 0
	s_and_b32 s14, exec_lo, s72
	s_mov_b64 s[40:41], 1
	s_mov_b32 s72, 0
	v_add_nc_u64_e32 v[44:45], 0x80, v[42:43]
	s_wait_loadcnt_dscnt 0x0
	flat_store_b32 v[42:43], v40 th:TH_STORE_NT
	v_dual_cndmask_b32 v119, v119, v45 :: v_dual_cndmask_b32 v118, v118, v44
	v_dual_cndmask_b32 v11, v11, v45, s13 :: v_dual_cndmask_b32 v10, v10, v44, s13
	s_mov_b32 vcc_lo, s14
	s_cbranch_vccnz .LBB4_861
; %bb.862:                              ;   in Loop: Header=BB4_860 Depth=4
	v_sub_nc_u32_e32 v103, v103, v52
	s_delay_alu instid0(VALU_DEP_2)
	v_add_nc_u64_e32 v[10:11], v[10:11], v[66:67]
	v_add_nc_u64_e32 v[118:119], v[118:119], v[66:67]
	s_wait_xcnt 0x1
	v_add_nc_u64_e32 v[8:9], v[80:81], v[8:9]
	v_cmp_gt_i32_e32 vcc_lo, 4, v103
	s_or_b32 s63, vcc_lo, s63
	s_wait_xcnt 0x0
	s_and_not1_b32 exec_lo, exec_lo, s63
	s_cbranch_execnz .LBB4_860
.LBB4_863:                              ;   in Loop: Header=BB4_758 Depth=3
	s_or_b32 exec_lo, exec_lo, s15
	s_mov_b32 s13, 0
.LBB4_864:                              ;   in Loop: Header=BB4_758 Depth=3
	s_delay_alu instid0(SALU_CYCLE_1)
	s_and_b32 vcc_lo, exec_lo, s13
	s_cbranch_vccz .LBB4_893
; %bb.865:                              ;   in Loop: Header=BB4_758 Depth=3
	s_mov_b32 s13, -1
	s_and_saveexec_b32 s14, s11
	s_cbranch_execz .LBB4_867
; %bb.866:                              ;   in Loop: Header=BB4_758 Depth=3
	ds_load_b32 v8, v0 offset:720
	s_wait_dscnt 0x0
	v_and_b32_e32 v8, 15, v8
	s_delay_alu instid0(VALU_DEP_1)
	v_cmp_eq_u32_e32 vcc_lo, 0, v8
	s_or_not1_b32 s13, vcc_lo, exec_lo
.LBB4_867:                              ;   in Loop: Header=BB4_758 Depth=3
	s_or_b32 exec_lo, exec_lo, s14
	s_and_saveexec_b32 s14, s7
	s_cbranch_execz .LBB4_869
; %bb.868:                              ;   in Loop: Header=BB4_758 Depth=3
	ds_load_b32 v8, v0 offset:784
	s_wait_dscnt 0x0
	v_and_b32_e32 v8, 15, v8
	s_delay_alu instid0(VALU_DEP_1) | instskip(SKIP_3) | instid1(SALU_CYCLE_1)
	v_cmp_eq_u32_e32 vcc_lo, 0, v8
	s_and_b32 s15, s13, vcc_lo
	s_and_not1_b32 s13, s13, exec_lo
	s_and_b32 s15, s15, exec_lo
	s_or_b32 s13, s13, s15
.LBB4_869:                              ;   in Loop: Header=BB4_758 Depth=3
	s_or_b32 exec_lo, exec_lo, s14
	s_xor_b32 s13, s13, -1
	v_mov_b32_e32 v103, 0
	v_cndmask_b32_e64 v8, 0, 1, s13
	s_mov_b32 s15, -1
	s_delay_alu instid0(VALU_DEP_1)
	v_cmp_ne_u32_e32 vcc_lo, 0, v8
	s_cbranch_vccz .LBB4_871
; %bb.870:                              ;   in Loop: Header=BB4_758 Depth=3
	v_dual_mov_b32 v40, v0 :: v_dual_mov_b32 v8, v60
	s_and_saveexec_b32 s13, s15
	s_cbranch_execnz .LBB4_884
	s_branch .LBB4_892
.LBB4_871:                              ;   in Loop: Header=BB4_758 Depth=3
	v_ashrrev_i32_e32 v8, 31, v101
	s_mov_b32 s13, exec_lo
	s_delay_alu instid0(VALU_DEP_1) | instskip(NEXT) | instid1(VALU_DEP_1)
	v_lshrrev_b32_e32 v8, 21, v8
	v_add_nc_u32_e32 v8, v101, v8
	s_delay_alu instid0(VALU_DEP_1) | instskip(NEXT) | instid1(VALU_DEP_1)
	v_ashrrev_i32_e32 v103, 11, v8
	v_sub_nc_u32_e32 v118, v103, v60
	s_delay_alu instid0(VALU_DEP_1)
	v_cmpx_lt_i32_e32 0, v118
	s_cbranch_execz .LBB4_875
; %bb.872:                              ;   in Loop: Header=BB4_758 Depth=3
	v_mov_b64_e32 v[8:9], v[116:117]
	v_mov_b64_e32 v[10:11], v[114:115]
	s_mov_b32 s14, 0
.LBB4_873:                              ;   Parent Loop BB4_47 Depth=1
                                        ;     Parent Loop BB4_755 Depth=2
                                        ;       Parent Loop BB4_758 Depth=3
                                        ; =>      This Inner Loop Header: Depth=4
	s_delay_alu instid0(VALU_DEP_1)
	v_add_nc_u64_e32 v[44:45], v[70:71], v[10:11]
	v_sub_nc_u32_e32 v118, v118, v32
	v_add_nc_u64_e32 v[10:11], v[10:11], v[48:49]
	s_clause 0x3
	global_load_b128 v[40:43], v[44:45], off th:TH_LOAD_NT
	global_load_b128 v[72:75], v[44:45], off offset:512 th:TH_LOAD_NT
	global_load_b128 v[76:79], v[44:45], off offset:1024 th:TH_LOAD_NT
	global_load_b128 v[88:91], v[44:45], off offset:1536 th:TH_LOAD_NT
	s_wait_xcnt 0x0
	v_add_nc_u64_e32 v[44:45], v[70:71], v[8:9]
	v_cmp_gt_i32_e32 vcc_lo, 1, v118
	v_add_nc_u64_e32 v[8:9], v[8:9], v[48:49]
	s_wait_loadcnt 0x3
	global_store_b128 v[44:45], v[40:43], off th:TH_STORE_NT
	s_wait_loadcnt 0x2
	global_store_b128 v[44:45], v[72:75], off offset:512 th:TH_STORE_NT
	s_wait_loadcnt 0x1
	global_store_b128 v[44:45], v[76:79], off offset:1024 th:TH_STORE_NT
	;; [unrolled: 2-line block ×3, first 2 shown]
	s_or_b32 s14, vcc_lo, s14
	s_wait_xcnt 0x0
	s_and_not1_b32 exec_lo, exec_lo, s14
	s_cbranch_execnz .LBB4_873
; %bb.874:                              ;   in Loop: Header=BB4_758 Depth=3
	s_or_b32 exec_lo, exec_lo, s14
.LBB4_875:                              ;   in Loop: Header=BB4_758 Depth=3
	s_delay_alu instid0(SALU_CYCLE_1) | instskip(SKIP_3) | instid1(VALU_DEP_1)
	s_or_b32 exec_lo, exec_lo, s13
	v_dual_mov_b32 v103, 0 :: v_dual_lshlrev_b32 v10, 11, v103
	s_mov_b32 s15, 0
	s_mov_b32 s14, exec_lo
                                        ; implicit-def: $vgpr40
                                        ; implicit-def: $vgpr8
	v_cmpx_ne_u32_e64 v101, v10
	s_cbranch_execz .LBB4_883
; %bb.876:                              ;   in Loop: Header=BB4_758 Depth=3
	v_lshlrev_b32_e32 v8, 5, v118
	v_sub_nc_u32_e32 v103, v101, v10
	s_mov_b32 s15, exec_lo
	s_delay_alu instid0(VALU_DEP_1) | instskip(NEXT) | instid1(VALU_DEP_1)
	v_dual_sub_nc_u32 v8, v61, v8 :: v_dual_ashrrev_i32 v11, 31, v103
	v_dual_ashrrev_i32 v9, 31, v8 :: v_dual_lshrrev_b32 v11, 23, v11
	s_delay_alu instid0(VALU_DEP_1) | instskip(NEXT) | instid1(VALU_DEP_1)
	v_lshrrev_b32_e32 v9, 27, v9
	v_add_nc_u32_e32 v9, v8, v9
	s_delay_alu instid0(VALU_DEP_1) | instskip(NEXT) | instid1(VALU_DEP_1)
	v_and_b32_e32 v118, 0xffffffe0, v9
	v_dual_add_nc_u32 v40, v103, v11 :: v_dual_sub_nc_u32 v118, v8, v118
	s_delay_alu instid0(VALU_DEP_1) | instskip(SKIP_1) | instid1(VALU_DEP_2)
	v_and_b32_e32 v11, 0xfffffe00, v40
	v_dual_ashrrev_i32 v9, 5, v9 :: v_dual_ashrrev_i32 v40, 9, v40
	v_dual_lshlrev_b32 v8, 4, v118 :: v_dual_sub_nc_u32 v119, v103, v11
	s_delay_alu instid0(VALU_DEP_1) | instskip(NEXT) | instid1(VALU_DEP_2)
	v_lshl_add_u32 v8, v9, 9, v8
	v_cmp_lt_i32_e32 vcc_lo, 15, v119
	s_delay_alu instid0(VALU_DEP_4) | instskip(NEXT) | instid1(VALU_DEP_1)
	v_add_co_ci_u32_e64 v40, null, 0, v40, vcc_lo
	v_dual_sub_nc_u32 v103, v103, v8 :: v_dual_sub_nc_u32 v41, v40, v9
	s_delay_alu instid0(VALU_DEP_1)
	v_cmpx_lt_i32_e32 15, v103
	s_cbranch_execz .LBB4_880
; %bb.877:                              ;   in Loop: Header=BB4_758 Depth=3
	v_add_nc_u32_e32 v8, v8, v10
	s_mov_b32 s40, 0
	s_delay_alu instid0(VALU_DEP_1)
	v_ashrrev_i32_e32 v9, 31, v8
.LBB4_878:                              ;   Parent Loop BB4_47 Depth=1
                                        ;     Parent Loop BB4_755 Depth=2
                                        ;       Parent Loop BB4_758 Depth=3
                                        ; =>      This Inner Loop Header: Depth=4
	s_delay_alu instid0(VALU_DEP_1) | instskip(SKIP_3) | instid1(VALU_DEP_3)
	v_add_nc_u64_e32 v[42:43], v[114:115], v[8:9]
	v_dual_sub_nc_u32 v103, v103, v50 :: v_dual_sub_nc_u32 v41, v41, v32
	v_add_nc_u64_e32 v[62:63], v[116:117], v[8:9]
	v_add_nc_u64_e32 v[8:9], v[8:9], v[50:51]
	v_cmp_gt_i32_e64 s13, 16, v103
	global_load_b128 v[42:45], v[42:43], off th:TH_LOAD_NT
	s_or_b32 s40, s13, s40
	s_wait_loadcnt 0x0
	global_store_b128 v[62:63], v[42:45], off th:TH_STORE_NT
	s_wait_xcnt 0x0
	s_and_not1_b32 exec_lo, exec_lo, s40
	s_cbranch_execnz .LBB4_878
; %bb.879:                              ;   in Loop: Header=BB4_758 Depth=3
	s_or_b32 exec_lo, exec_lo, s40
.LBB4_880:                              ;   in Loop: Header=BB4_758 Depth=3
	s_delay_alu instid0(SALU_CYCLE_1) | instskip(SKIP_3) | instid1(VALU_DEP_1)
	s_or_b32 exec_lo, exec_lo, s15
	v_dual_mov_b32 v103, 0 :: v_dual_bitop2_b32 v9, 12, v101 bitop3:0x40
	s_mov_b32 s15, 0
	s_mov_b32 s40, exec_lo
                                        ; implicit-def: $vgpr40
                                        ; implicit-def: $vgpr8
	v_cndmask_b32_e32 v101, v119, v9, vcc_lo
	s_delay_alu instid0(VALU_DEP_1)
	v_cmpx_ne_u32_e32 0, v101
	s_cbranch_execz .LBB4_882
; %bb.881:                              ;   in Loop: Header=BB4_758 Depth=3
	v_cmp_lt_i32_e64 s13, 0, v41
	s_mov_b32 s15, exec_lo
	v_dual_sub_nc_u32 v9, v119, v9 :: v_dual_cndmask_b32 v8, 0, v32, s13
	s_delay_alu instid0(VALU_DEP_1) | instskip(NEXT) | instid1(VALU_DEP_2)
	v_cndmask_b32_e32 v9, 0, v9, vcc_lo
	v_sub_nc_u32_e32 v8, v8, v41
	s_delay_alu instid0(VALU_DEP_2) | instskip(NEXT) | instid1(VALU_DEP_2)
	v_add3_u32 v103, v11, v10, v9
	v_lshl_add_u32 v40, v8, 5, v118
	s_delay_alu instid0(VALU_DEP_1) | instskip(NEXT) | instid1(VALU_DEP_1)
	v_ashrrev_i32_e32 v8, 31, v40
	v_lshrrev_b32_e32 v8, 27, v8
	s_delay_alu instid0(VALU_DEP_1) | instskip(NEXT) | instid1(VALU_DEP_1)
	v_add_nc_u32_e32 v8, v40, v8
	v_ashrrev_i32_e32 v8, 5, v8
.LBB4_882:                              ;   in Loop: Header=BB4_758 Depth=3
	s_or_b32 exec_lo, exec_lo, s40
	s_delay_alu instid0(SALU_CYCLE_1)
	s_and_b32 s15, s15, exec_lo
.LBB4_883:                              ;   in Loop: Header=BB4_758 Depth=3
	s_or_b32 exec_lo, exec_lo, s14
	s_and_saveexec_b32 s13, s15
	s_cbranch_execz .LBB4_892
.LBB4_884:                              ;   in Loop: Header=BB4_758 Depth=3
	v_ashrrev_i32_e32 v9, 31, v101
	s_mov_b32 s14, exec_lo
	s_delay_alu instid0(VALU_DEP_1) | instskip(NEXT) | instid1(VALU_DEP_1)
	v_lshrrev_b32_e32 v9, 23, v9
	v_add_nc_u32_e32 v9, v101, v9
	s_delay_alu instid0(VALU_DEP_1) | instskip(NEXT) | instid1(VALU_DEP_1)
	v_ashrrev_i32_e32 v42, 9, v9
	v_sub_nc_u32_e32 v41, v42, v8
	s_delay_alu instid0(VALU_DEP_1)
	v_cmpx_lt_i32_e32 0, v41
	s_cbranch_execz .LBB4_888
; %bb.885:                              ;   in Loop: Header=BB4_758 Depth=3
	v_ashrrev_i32_e32 v9, 31, v40
	v_mov_b64_e32 v[10:11], v[116:117]
	v_mov_b64_e32 v[118:119], v[114:115]
	s_mov_b32 s15, 0
	s_delay_alu instid0(VALU_DEP_3) | instskip(NEXT) | instid1(VALU_DEP_1)
	v_dual_lshlrev_b32 v8, 9, v8 :: v_dual_lshrrev_b32 v9, 27, v9
	v_add_nc_u32_e32 v9, v40, v9
	s_delay_alu instid0(VALU_DEP_1) | instskip(NEXT) | instid1(VALU_DEP_1)
	v_and_b32_e32 v9, 0x3fffffe0, v9
	v_sub_nc_u32_e32 v9, v40, v9
	s_delay_alu instid0(VALU_DEP_1) | instskip(NEXT) | instid1(VALU_DEP_1)
	v_lshlrev_b32_e32 v9, 2, v9
	v_add3_u32 v8, v9, v103, v8
	s_delay_alu instid0(VALU_DEP_1)
	v_ashrrev_i32_e32 v9, 31, v8
.LBB4_886:                              ;   Parent Loop BB4_47 Depth=1
                                        ;     Parent Loop BB4_755 Depth=2
                                        ;       Parent Loop BB4_758 Depth=3
                                        ; =>      This Inner Loop Header: Depth=4
	s_delay_alu instid0(VALU_DEP_1)
	v_add_nc_u64_e32 v[44:45], v[8:9], v[118:119]
	v_sub_nc_u32_e32 v41, v41, v32
	v_add_nc_u64_e32 v[118:119], v[118:119], v[50:51]
	s_clause 0x3
	flat_load_b32 v43, v[44:45] th:TH_LOAD_NT
	flat_load_b32 v47, v[44:45] offset:128 th:TH_LOAD_NT
	flat_load_b32 v62, v[44:45] offset:256 th:TH_LOAD_NT
	flat_load_b32 v63, v[44:45] offset:384 th:TH_LOAD_NT
	s_wait_xcnt 0x0
	v_add_nc_u64_e32 v[44:45], v[8:9], v[10:11]
	v_cmp_gt_i32_e32 vcc_lo, 1, v41
	v_add_nc_u64_e32 v[10:11], v[10:11], v[50:51]
	s_wait_loadcnt_dscnt 0x303
	flat_store_b32 v[44:45], v43 th:TH_STORE_NT
	s_wait_loadcnt_dscnt 0x203
	flat_store_b32 v[44:45], v47 offset:128 th:TH_STORE_NT
	s_wait_loadcnt_dscnt 0x103
	flat_store_b32 v[44:45], v62 offset:256 th:TH_STORE_NT
	s_wait_loadcnt_dscnt 0x3
	flat_store_b32 v[44:45], v63 offset:384 th:TH_STORE_NT
	s_or_b32 s15, vcc_lo, s15
	s_wait_xcnt 0x0
	s_and_not1_b32 exec_lo, exec_lo, s15
	s_cbranch_execnz .LBB4_886
; %bb.887:                              ;   in Loop: Header=BB4_758 Depth=3
	s_or_b32 exec_lo, exec_lo, s15
.LBB4_888:                              ;   in Loop: Header=BB4_758 Depth=3
	s_delay_alu instid0(SALU_CYCLE_1) | instskip(SKIP_1) | instid1(VALU_DEP_1)
	s_or_b32 exec_lo, exec_lo, s14
	v_lshlrev_b32_e32 v8, 9, v42
	v_cmp_ne_u32_e32 vcc_lo, v101, v8
	s_and_b32 exec_lo, exec_lo, vcc_lo
	s_cbranch_execz .LBB4_892
; %bb.889:                              ;   in Loop: Header=BB4_758 Depth=3
	v_dual_ashrrev_i32 v9, 31, v40 :: v_dual_lshlrev_b32 v10, 5, v41
	s_delay_alu instid0(VALU_DEP_1) | instskip(NEXT) | instid1(VALU_DEP_1)
	v_lshrrev_b32_e32 v9, 27, v9
	v_add_nc_u32_e32 v9, v40, v9
	s_delay_alu instid0(VALU_DEP_1) | instskip(NEXT) | instid1(VALU_DEP_1)
	v_and_b32_e32 v9, 0xffffffe0, v9
	v_sub_nc_u32_e32 v9, v40, v9
	s_delay_alu instid0(VALU_DEP_1) | instskip(NEXT) | instid1(VALU_DEP_1)
	v_sub_nc_u32_e32 v9, v9, v10
	v_ashrrev_i32_e32 v10, 31, v9
	s_delay_alu instid0(VALU_DEP_1) | instskip(NEXT) | instid1(VALU_DEP_1)
	v_lshrrev_b32_e32 v10, 27, v10
	v_add_nc_u32_e32 v10, v9, v10
	s_delay_alu instid0(VALU_DEP_1) | instskip(NEXT) | instid1(VALU_DEP_1)
	v_and_b32_e32 v11, 0x3fffffe0, v10
	v_sub_nc_u32_e32 v9, v9, v11
	s_delay_alu instid0(VALU_DEP_1) | instskip(NEXT) | instid1(VALU_DEP_1)
	v_dual_lshlrev_b32 v9, 2, v9 :: v_dual_lshlrev_b32 v10, 2, v10
	v_and_b32_e32 v10, 0xffffff80, v10
	s_delay_alu instid0(VALU_DEP_1) | instskip(NEXT) | instid1(VALU_DEP_1)
	v_add3_u32 v8, v10, v9, v8
	v_sub_nc_u32_e32 v10, v101, v8
	s_delay_alu instid0(VALU_DEP_1)
	v_cmp_lt_i32_e32 vcc_lo, 3, v10
	s_and_b32 exec_lo, exec_lo, vcc_lo
	s_cbranch_execz .LBB4_892
; %bb.890:                              ;   in Loop: Header=BB4_758 Depth=3
	v_add_nc_u32_e32 v8, v8, v103
	s_mov_b32 s14, 0
	s_delay_alu instid0(VALU_DEP_1)
	v_ashrrev_i32_e32 v9, 31, v8
.LBB4_891:                              ;   Parent Loop BB4_47 Depth=1
                                        ;     Parent Loop BB4_755 Depth=2
                                        ;       Parent Loop BB4_758 Depth=3
                                        ; =>      This Inner Loop Header: Depth=4
	s_delay_alu instid0(VALU_DEP_1) | instskip(SKIP_1) | instid1(VALU_DEP_1)
	v_add_nc_u64_e32 v[118:119], v[114:115], v[8:9]
	v_sub_nc_u32_e32 v10, v10, v52
	v_cmp_gt_i32_e32 vcc_lo, 4, v10
	flat_load_b32 v11, v[118:119] th:TH_LOAD_NT
	s_wait_xcnt 0x0
	v_add_nc_u64_e32 v[118:119], v[116:117], v[8:9]
	v_add_nc_u64_e32 v[8:9], v[8:9], v[52:53]
	s_or_b32 s14, vcc_lo, s14
	s_wait_loadcnt_dscnt 0x0
	flat_store_b32 v[118:119], v11 th:TH_STORE_NT
	s_wait_xcnt 0x0
	s_and_not1_b32 exec_lo, exec_lo, s14
	s_cbranch_execnz .LBB4_891
.LBB4_892:                              ;   in Loop: Header=BB4_758 Depth=3
	s_or_b32 exec_lo, exec_lo, s13
.LBB4_893:                              ;   in Loop: Header=BB4_758 Depth=3
	v_cmp_lt_i32_e64 s13, 0, v2
	s_and_saveexec_b32 s14, s2
	s_cbranch_execz .LBB4_834
.LBB4_894:                              ;   in Loop: Header=BB4_758 Depth=3
	s_and_saveexec_b32 s15, s3
	s_delay_alu instid0(SALU_CYCLE_1)
	s_xor_b32 s15, exec_lo, s15
	s_cbranch_execz .LBB4_909
; %bb.895:                              ;   in Loop: Header=BB4_758 Depth=3
	s_and_saveexec_b32 s40, s6
	s_cbranch_execz .LBB4_908
; %bb.896:                              ;   in Loop: Header=BB4_758 Depth=3
	s_mov_b32 s63, exec_lo
	s_mov_b32 s41, exec_lo
	v_mbcnt_lo_u32_b32 v2, s63, 0
	global_wb scope:SCOPE_DEV
	s_wait_storecnt 0x0
	s_wait_loadcnt_dscnt 0x0
	global_inv scope:SCOPE_DEV
	v_cmpx_eq_u32_e32 0, v2
	s_cbranch_execz .LBB4_898
; %bb.897:                              ;   in Loop: Header=BB4_758 Depth=3
	s_bcnt1_i32_b32 s63, s63
	s_delay_alu instid0(SALU_CYCLE_1)
	v_mov_b32_e32 v2, s63
	s_wait_loadcnt 0x0
	ds_add_u64 v0, v[2:3]
	s_trap 2
.LBB4_898:                              ;   in Loop: Header=BB4_758 Depth=3
	s_or_b32 exec_lo, exec_lo, s41
	s_trap 2
	ds_load_b64 v[8:9], v0
	s_wait_dscnt 0x0
	v_add_nc_u64_e32 v[12:13], v[12:13], v[32:33]
	s_mov_b32 s41, exec_lo
	s_delay_alu instid0(VALU_DEP_1)
	v_cmpx_lt_u64_e64 v[8:9], v[12:13]
	s_cbranch_execz .LBB4_907
; %bb.899:                              ;   in Loop: Header=BB4_758 Depth=3
	s_mov_b32 s63, 0
	s_mov_b32 s74, 0
                                        ; implicit-def: $sgpr72
                                        ; implicit-def: $sgpr73
	s_branch .LBB4_901
.LBB4_900:                              ;   in Loop: Header=BB4_901 Depth=4
	s_or_b32 exec_lo, exec_lo, s76
	s_delay_alu instid0(SALU_CYCLE_1) | instskip(NEXT) | instid1(SALU_CYCLE_1)
	s_and_b32 s75, exec_lo, s77
	s_or_b32 s63, s75, s63
	s_and_not1_b32 s72, s72, exec_lo
	s_and_b32 s75, s73, exec_lo
	s_delay_alu instid0(SALU_CYCLE_1)
	s_or_b32 s72, s72, s75
	s_and_not1_b32 exec_lo, exec_lo, s63
	s_cbranch_execz .LBB4_905
.LBB4_901:                              ;   Parent Loop BB4_47 Depth=1
                                        ;     Parent Loop BB4_755 Depth=2
                                        ;       Parent Loop BB4_758 Depth=3
                                        ; =>      This Inner Loop Header: Depth=4
	s_add_co_i32 s74, s74, 1
	s_delay_alu instid0(SALU_CYCLE_1) | instskip(SKIP_1) | instid1(SALU_CYCLE_1)
	s_cmp_lg_u32 s74, 0x2710
	s_cselect_b32 s75, -1, 0
	s_and_b32 vcc_lo, exec_lo, s75
	s_cbranch_vccz .LBB4_903
; %bb.902:                              ;   in Loop: Header=BB4_901 Depth=4
	s_mov_b32 s77, -1
	s_or_b32 s73, s73, exec_lo
	s_and_saveexec_b32 s76, s75
	s_cbranch_execz .LBB4_900
	s_branch .LBB4_904
.LBB4_903:                              ;   in Loop: Header=BB4_901 Depth=4
	s_trap 2
	ds_load_b64 v[8:9], v0
	s_and_not1_b32 s75, s75, exec_lo
	s_mov_b32 s74, 0
	s_wait_loadcnt_dscnt 0x0
	flat_load_b32 v2, v[8:9] scope:SCOPE_SYS
	s_wait_loadcnt_dscnt 0x0
	global_inv scope:SCOPE_SYS
	v_cmp_eq_u32_e32 vcc_lo, 0, v2
	s_and_b32 s76, vcc_lo, exec_lo
	s_delay_alu instid0(SALU_CYCLE_1)
	s_or_b32 s75, s75, s76
	s_mov_b32 s77, -1
	s_or_b32 s73, s73, exec_lo
	s_and_saveexec_b32 s76, s75
	s_cbranch_execz .LBB4_900
.LBB4_904:                              ;   in Loop: Header=BB4_901 Depth=4
	s_sleep 1
	s_trap 2
	ds_load_b64 v[8:9], v0
	s_wait_dscnt 0x0
	s_and_not1_b32 s73, s73, exec_lo
	v_cmp_ge_u64_e32 vcc_lo, v[8:9], v[12:13]
	s_or_not1_b32 s77, vcc_lo, exec_lo
	s_branch .LBB4_900
.LBB4_905:                              ;   in Loop: Header=BB4_758 Depth=3
	s_or_b32 exec_lo, exec_lo, s63
	s_and_saveexec_b32 s63, s72
	s_delay_alu instid0(SALU_CYCLE_1)
	s_xor_b32 s63, exec_lo, s63
	s_cbranch_execz .LBB4_907
; %bb.906:                              ;   in Loop: Header=BB4_758 Depth=3
	ds_store_b32 v0, v57
	s_trap 2
.LBB4_907:                              ;   in Loop: Header=BB4_758 Depth=3
	s_or_b32 exec_lo, exec_lo, s41
	;;#ASMSTART
	s_wakeup
	;;#ASMEND
.LBB4_908:                              ;   in Loop: Header=BB4_758 Depth=3
	s_or_b32 exec_lo, exec_lo, s40
.LBB4_909:                              ;   in Loop: Header=BB4_758 Depth=3
	s_and_not1_saveexec_b32 s15, s15
	s_cbranch_execz .LBB4_911
; %bb.910:                              ;   in Loop: Header=BB4_758 Depth=3
	global_wb scope:SCOPE_DEV
	s_wait_storecnt 0x0
	s_wait_loadcnt_dscnt 0x0
	global_inv scope:SCOPE_DEV
	s_barrier_signal -1
	s_barrier_wait -1
.LBB4_911:                              ;   in Loop: Header=BB4_758 Depth=3
	s_or_b32 exec_lo, exec_lo, s15
	s_delay_alu instid0(SALU_CYCLE_1) | instskip(SKIP_1) | instid1(SALU_CYCLE_1)
	s_or_b32 exec_lo, exec_lo, s14
                                        ; implicit-def: $vgpr2
	s_and_saveexec_b32 s14, s10
	s_xor_b32 s14, exec_lo, s14
	s_cbranch_execnz .LBB4_835
.LBB4_912:                              ;   in Loop: Header=BB4_758 Depth=3
	s_and_not1_saveexec_b32 s13, s14
	s_cbranch_execz .LBB4_931
.LBB4_913:                              ;   in Loop: Header=BB4_758 Depth=3
	s_and_saveexec_b32 s14, s3
	s_delay_alu instid0(SALU_CYCLE_1)
	s_xor_b32 s14, exec_lo, s14
	s_cbranch_execz .LBB4_928
; %bb.914:                              ;   in Loop: Header=BB4_758 Depth=3
	s_and_saveexec_b32 s15, s6
	s_cbranch_execz .LBB4_927
; %bb.915:                              ;   in Loop: Header=BB4_758 Depth=3
	s_mov_b32 s41, exec_lo
	s_mov_b32 s40, exec_lo
	v_mbcnt_lo_u32_b32 v2, s41, 0
	;;#ASMSTART
	s_waitcnt lgkmcnt(0) vmcnt(0)
	;;#ASMEND
	s_delay_alu instid0(VALU_DEP_1)
	v_cmpx_eq_u32_e32 0, v2
	s_cbranch_execz .LBB4_917
; %bb.916:                              ;   in Loop: Header=BB4_758 Depth=3
	s_bcnt1_i32_b32 s41, s41
	s_delay_alu instid0(SALU_CYCLE_1)
	v_mov_b32_e32 v2, s41
	s_wait_storecnt 0x0
	s_wait_loadcnt_dscnt 0x0
	ds_add_u64 v0, v[2:3]
	s_trap 2
.LBB4_917:                              ;   in Loop: Header=BB4_758 Depth=3
	s_or_b32 exec_lo, exec_lo, s40
	s_trap 2
	ds_load_b64 v[8:9], v0
	s_wait_dscnt 0x0
	v_add_nc_u64_e32 v[12:13], v[12:13], v[32:33]
	s_mov_b32 s40, exec_lo
	s_delay_alu instid0(VALU_DEP_1)
	v_cmpx_lt_u64_e64 v[8:9], v[12:13]
	s_cbranch_execz .LBB4_926
; %bb.918:                              ;   in Loop: Header=BB4_758 Depth=3
	s_mov_b32 s41, 0
	s_mov_b32 s73, 0
                                        ; implicit-def: $sgpr63
                                        ; implicit-def: $sgpr72
	s_branch .LBB4_920
.LBB4_919:                              ;   in Loop: Header=BB4_920 Depth=4
	s_or_b32 exec_lo, exec_lo, s75
	s_delay_alu instid0(SALU_CYCLE_1) | instskip(NEXT) | instid1(SALU_CYCLE_1)
	s_and_b32 s74, exec_lo, s76
	s_or_b32 s41, s74, s41
	s_and_not1_b32 s63, s63, exec_lo
	s_and_b32 s74, s72, exec_lo
	s_delay_alu instid0(SALU_CYCLE_1)
	s_or_b32 s63, s63, s74
	s_and_not1_b32 exec_lo, exec_lo, s41
	s_cbranch_execz .LBB4_924
.LBB4_920:                              ;   Parent Loop BB4_47 Depth=1
                                        ;     Parent Loop BB4_755 Depth=2
                                        ;       Parent Loop BB4_758 Depth=3
                                        ; =>      This Inner Loop Header: Depth=4
	s_add_co_i32 s73, s73, 1
	s_delay_alu instid0(SALU_CYCLE_1) | instskip(SKIP_1) | instid1(SALU_CYCLE_1)
	s_cmp_lg_u32 s73, 0x2710
	s_cselect_b32 s74, -1, 0
	s_and_b32 vcc_lo, exec_lo, s74
	s_cbranch_vccz .LBB4_922
; %bb.921:                              ;   in Loop: Header=BB4_920 Depth=4
	s_mov_b32 s76, -1
	s_or_b32 s72, s72, exec_lo
	s_and_saveexec_b32 s75, s74
	s_cbranch_execz .LBB4_919
	s_branch .LBB4_923
.LBB4_922:                              ;   in Loop: Header=BB4_920 Depth=4
	s_trap 2
	ds_load_b64 v[8:9], v0
	s_and_not1_b32 s74, s74, exec_lo
	s_mov_b32 s73, 0
	s_wait_storecnt 0x0
	s_wait_loadcnt_dscnt 0x0
	flat_load_b32 v2, v[8:9] scope:SCOPE_SYS
	s_wait_loadcnt_dscnt 0x0
	global_inv scope:SCOPE_SYS
	v_cmp_eq_u32_e32 vcc_lo, 0, v2
	s_and_b32 s75, vcc_lo, exec_lo
	s_delay_alu instid0(SALU_CYCLE_1)
	s_or_b32 s74, s74, s75
	s_mov_b32 s76, -1
	s_or_b32 s72, s72, exec_lo
	s_and_saveexec_b32 s75, s74
	s_cbranch_execz .LBB4_919
.LBB4_923:                              ;   in Loop: Header=BB4_920 Depth=4
	s_sleep 1
	s_trap 2
	ds_load_b64 v[8:9], v0
	s_wait_dscnt 0x0
	s_and_not1_b32 s72, s72, exec_lo
	v_cmp_ge_u64_e32 vcc_lo, v[8:9], v[12:13]
	s_or_not1_b32 s76, vcc_lo, exec_lo
	s_branch .LBB4_919
.LBB4_924:                              ;   in Loop: Header=BB4_758 Depth=3
	s_or_b32 exec_lo, exec_lo, s41
	s_and_saveexec_b32 s41, s63
	s_delay_alu instid0(SALU_CYCLE_1)
	s_xor_b32 s41, exec_lo, s41
	s_cbranch_execz .LBB4_926
; %bb.925:                              ;   in Loop: Header=BB4_758 Depth=3
	ds_store_b32 v0, v57
	s_trap 2
.LBB4_926:                              ;   in Loop: Header=BB4_758 Depth=3
	s_or_b32 exec_lo, exec_lo, s40
	;;#ASMSTART
	s_wakeup
	;;#ASMEND
.LBB4_927:                              ;   in Loop: Header=BB4_758 Depth=3
	s_or_b32 exec_lo, exec_lo, s15
.LBB4_928:                              ;   in Loop: Header=BB4_758 Depth=3
	s_and_not1_saveexec_b32 s14, s14
	s_cbranch_execz .LBB4_930
; %bb.929:                              ;   in Loop: Header=BB4_758 Depth=3
	;;#ASMSTART
	s_waitcnt lgkmcnt(0) vmcnt(0)
	;;#ASMEND
	s_barrier_signal -1
	s_barrier_wait -1
.LBB4_930:                              ;   in Loop: Header=BB4_758 Depth=3
	s_or_b32 exec_lo, exec_lo, s14
	v_and_b32_e32 v2, 16, v30
.LBB4_931:                              ;   in Loop: Header=BB4_758 Depth=3
	s_or_b32 exec_lo, exec_lo, s13
	s_delay_alu instid0(VALU_DEP_1) | instskip(SKIP_1) | instid1(SALU_CYCLE_1)
	v_cmp_ne_u32_e32 vcc_lo, 0, v2
	s_xor_b32 s13, s4, -1
	s_and_b32 s14, vcc_lo, s13
	s_delay_alu instid0(SALU_CYCLE_1)
	s_and_saveexec_b32 s13, s14
	s_cbranch_execz .LBB4_933
; %bb.932:                              ;   in Loop: Header=BB4_758 Depth=3
	global_wb scope:SCOPE_SYS
	s_wait_storecnt 0x0
	s_wait_loadcnt_dscnt 0x0
	flat_store_b32 v[26:27], v57 scope:SCOPE_SYS
.LBB4_933:                              ;   in Loop: Header=BB4_758 Depth=3
	s_wait_xcnt 0x0
	s_or_b32 exec_lo, exec_lo, s13
	v_and_b32_e32 v2, 48, v30
	s_mov_b32 s13, exec_lo
	s_delay_alu instid0(VALU_DEP_1)
	v_cmpx_ne_u32_e32 0, v2
	s_cbranch_execz .LBB4_757
; %bb.934:                              ;   in Loop: Header=BB4_758 Depth=3
	v_add_nc_u64_e32 v[86:87], 2, v[86:87]
	global_wb scope:SCOPE_SYS
	s_wait_storecnt 0x0
	s_wait_loadcnt_dscnt 0x0
	flat_store_b64 v[20:21], v[86:87] scope:SCOPE_SYS
	s_branch .LBB4_757
.LBB4_935:                              ;   in Loop: Header=BB4_755 Depth=2
	s_or_b32 exec_lo, exec_lo, s60
.LBB4_936:                              ;   in Loop: Header=BB4_755 Depth=2
	s_delay_alu instid0(SALU_CYCLE_1) | instskip(NEXT) | instid1(SALU_CYCLE_1)
	s_or_b32 exec_lo, exec_lo, s27
	s_mov_b32 s14, exec_lo
	v_cmpx_gt_i32_e32 2, v2
	s_cbranch_execz .LBB4_1012
; %bb.937:                              ;   in Loop: Header=BB4_755 Depth=2
	v_cmp_eq_u32_e64 s27, 0, v2
	s_mov_b32 s15, 0
	s_branch .LBB4_939
.LBB4_938:                              ;   in Loop: Header=BB4_939 Depth=3
	s_wait_xcnt 0x0
	s_or_b32 exec_lo, exec_lo, s13
	v_add_nc_u32_e32 v102, v100, v102
	s_mov_b32 s27, 0
	s_and_not1_b32 exec_lo, exec_lo, s15
	s_cbranch_execz .LBB4_1011
.LBB4_939:                              ;   Parent Loop BB4_47 Depth=1
                                        ;     Parent Loop BB4_755 Depth=2
                                        ; =>    This Loop Header: Depth=3
                                        ;         Child Loop BB4_945 Depth 4
                                        ;         Child Loop BB4_973 Depth 4
	;; [unrolled: 1-line block ×3, first 2 shown]
	s_delay_alu instid0(VALU_DEP_1) | instskip(SKIP_2) | instid1(VALU_DEP_2)
	v_sub_nc_u32_e32 v2, v46, v102
	v_and_b32_e32 v8, 12, v30
	s_mov_b32 s40, exec_lo
	v_min_i32_e32 v100, v100, v2
	s_delay_alu instid0(VALU_DEP_2)
	v_cmpx_ne_u32_e32 0, v8
	s_cbranch_execz .LBB4_965
; %bb.940:                              ;   in Loop: Header=BB4_939 Depth=3
	v_and_b32_e32 v2, 8, v30
	v_add_nc_u64_e32 v[8:9], 2, v[86:87]
	s_mov_b32 s41, exec_lo
	s_wait_loadcnt_dscnt 0x1
	s_delay_alu instid0(VALU_DEP_2) | instskip(NEXT) | instid1(VALU_DEP_1)
	v_add_nc_u64_e32 v[10:11], v[28:29], v[2:3]
	v_cmpx_lt_u64_e64 v[10:11], v[8:9]
	s_cbranch_execz .LBB4_952
; %bb.941:                              ;   in Loop: Header=BB4_939 Depth=3
	v_and_b32_e32 v10, 64, v30
	s_mov_b32 s60, 0
	s_mov_b32 s72, 0
                                        ; implicit-def: $sgpr61
                                        ; implicit-def: $sgpr62
                                        ; implicit-def: $sgpr63
	s_delay_alu instid0(VALU_DEP_1)
	v_cmp_eq_u32_e32 vcc_lo, 0, v10
	s_branch .LBB4_945
.LBB4_942:                              ;   in Loop: Header=BB4_945 Depth=4
	s_wait_loadcnt_dscnt 0x0
	v_add_nc_u64_e32 v[112:113], v[28:29], v[2:3]
	s_or_b32 s75, s75, exec_lo
	s_delay_alu instid0(VALU_DEP_1)
	v_cmp_ge_u64_e64 s13, v[112:113], v[8:9]
	s_or_not1_b32 s74, s13, exec_lo
.LBB4_943:                              ;   in Loop: Header=BB4_945 Depth=4
	s_or_b32 exec_lo, exec_lo, s77
	s_delay_alu instid0(SALU_CYCLE_1)
	s_and_not1_b32 s13, s63, exec_lo
	s_and_b32 s63, s75, exec_lo
	s_and_not1_b32 s62, s62, exec_lo
	s_and_b32 s74, s74, exec_lo
	s_or_b32 s63, s13, s63
	s_or_b32 s62, s62, s74
.LBB4_944:                              ;   in Loop: Header=BB4_945 Depth=4
	s_or_b32 exec_lo, exec_lo, s73
	s_delay_alu instid0(SALU_CYCLE_1) | instskip(NEXT) | instid1(SALU_CYCLE_1)
	s_and_b32 s13, exec_lo, s62
	s_or_b32 s60, s13, s60
	s_and_not1_b32 s13, s61, exec_lo
	s_and_b32 s61, s63, exec_lo
	s_delay_alu instid0(SALU_CYCLE_1)
	s_or_b32 s61, s13, s61
	s_and_not1_b32 exec_lo, exec_lo, s60
	s_cbranch_execz .LBB4_949
.LBB4_945:                              ;   Parent Loop BB4_47 Depth=1
                                        ;     Parent Loop BB4_755 Depth=2
                                        ;       Parent Loop BB4_939 Depth=3
                                        ; =>      This Inner Loop Header: Depth=4
	s_sleep 1
	s_wait_loadcnt_dscnt 0x0
	flat_load_b64 v[28:29], v[20:21] scope:SCOPE_SYS
	s_or_b32 s63, s63, exec_lo
	s_or_b32 s62, s62, exec_lo
                                        ; implicit-def: $vgpr10
	s_wait_xcnt 0x0
	s_and_saveexec_b32 s73, vcc_lo
	s_cbranch_execz .LBB4_944
; %bb.946:                              ;   in Loop: Header=BB4_945 Depth=4
	s_cmp_lt_i32 s72, 0x270f
	s_mov_b32 s74, -1
	s_cselect_b32 s76, -1, 0
	s_cmp_gt_i32 s72, 0x270e
	s_cbranch_scc0 .LBB4_948
; %bb.947:                              ;   in Loop: Header=BB4_945 Depth=4
	s_trap 2
	ds_load_b64 v[10:11], v0
	s_and_not1_b32 s72, s76, exec_lo
	s_mov_b32 s75, 0
	s_wait_storecnt 0x0
	s_wait_loadcnt_dscnt 0x0
	flat_load_b32 v10, v[10:11] scope:SCOPE_SYS
	s_wait_loadcnt_dscnt 0x0
	global_inv scope:SCOPE_SYS
	v_cmp_eq_u32_e64 s13, 0, v10
	s_and_b32 s13, s13, exec_lo
	s_delay_alu instid0(SALU_CYCLE_1)
	s_or_b32 s76, s72, s13
	s_mov_b32 s72, 0
	s_and_saveexec_b32 s77, s76
	s_cbranch_execz .LBB4_943
	s_branch .LBB4_942
.LBB4_948:                              ;   in Loop: Header=BB4_945 Depth=4
	s_add_co_i32 s72, s72, 1
	s_mov_b32 s75, -1
                                        ; implicit-def: $vgpr10
	s_and_saveexec_b32 s77, s76
	s_cbranch_execz .LBB4_943
	s_branch .LBB4_942
.LBB4_949:                              ;   in Loop: Header=BB4_939 Depth=3
	s_or_b32 exec_lo, exec_lo, s60
	s_xor_b32 s13, s61, -1
	s_delay_alu instid0(SALU_CYCLE_1) | instskip(NEXT) | instid1(SALU_CYCLE_1)
	s_and_saveexec_b32 s60, s13
	s_xor_b32 s13, exec_lo, s60
	s_cbranch_execz .LBB4_951
; %bb.950:                              ;   in Loop: Header=BB4_939 Depth=3
	v_or_b32_e32 v30, 64, v30
	s_wait_storecnt 0x0
	s_wait_loadcnt_dscnt 0x0
	ds_store_b32 v0, v10
	s_trap 2
.LBB4_951:                              ;   in Loop: Header=BB4_939 Depth=3
	s_or_b32 exec_lo, exec_lo, s13
.LBB4_952:                              ;   in Loop: Header=BB4_939 Depth=3
	s_delay_alu instid0(SALU_CYCLE_1) | instskip(SKIP_2) | instid1(VALU_DEP_1)
	s_or_b32 exec_lo, exec_lo, s41
	v_and_b32_e32 v10, 0x108, v30
	;;#ASMSTART
	s_wakeup
	;;#ASMEND
	v_cmp_ne_u32_e32 vcc_lo, 0x108, v10
                                        ; implicit-def: $vgpr10_vgpr11
	s_and_saveexec_b32 s13, vcc_lo
	s_delay_alu instid0(SALU_CYCLE_1)
	s_xor_b32 s13, exec_lo, s13
; %bb.953:                              ;   in Loop: Header=BB4_939 Depth=3
	v_dual_mov_b32 v11, v3 :: v_dual_bitop2_b32 v10, 7, v86 bitop3:0x40
                                        ; implicit-def: $vgpr86_vgpr87
; %bb.954:                              ;   in Loop: Header=BB4_939 Depth=3
	s_and_not1_saveexec_b32 s13, s13
	s_cbranch_execz .LBB4_956
; %bb.955:                              ;   in Loop: Header=BB4_939 Depth=3
	v_dual_ashrrev_i32 v101, 31, v100 :: v_dual_bitop2_b32 v10, 7, v86 bitop3:0x40
	v_mov_b32_e32 v11, v3
	s_delay_alu instid0(VALU_DEP_2) | instskip(NEXT) | instid1(VALU_DEP_3)
	v_mad_nc_u64_u32 v[86:87], v10, 24, v[6:7]
	v_lshlrev_b64_e32 v[112:113], 2, v[100:101]
	flat_store_b64 v[86:87], v[112:113] offset:8
.LBB4_956:                              ;   in Loop: Header=BB4_939 Depth=3
	s_wait_xcnt 0x0
	s_or_b32 exec_lo, exec_lo, s13
	v_and_b32_e32 v86, 0x100, v30
	s_mov_b32 s13, -1
	s_delay_alu instid0(VALU_DEP_1)
	v_cmp_ne_u32_e32 vcc_lo, 0, v86
                                        ; implicit-def: $vgpr86_vgpr87
	s_and_saveexec_b32 s41, vcc_lo
	s_cbranch_execz .LBB4_960
; %bb.957:                              ;   in Loop: Header=BB4_939 Depth=3
	v_mad_nc_u64_u32 v[112:113], v10, 24, v[6:7]
	s_delay_alu instid0(VALU_DEP_1)
	v_mad_u32 v113, v11, 24, v113
	flat_load_b32 v86, v[112:113]
	s_wait_loadcnt_dscnt 0x0
	v_cmp_eq_u32_e64 s13, 1, v86
	v_cmp_ne_u32_e32 vcc_lo, 1, v86
                                        ; implicit-def: $vgpr86_vgpr87
	s_wait_xcnt 0x0
	s_and_saveexec_b32 s60, s13
	s_cbranch_execz .LBB4_959
; %bb.958:                              ;   in Loop: Header=BB4_939 Depth=3
	flat_load_b32 v86, v[112:113] offset:4 scope:SCOPE_SYS
	s_wait_loadcnt_dscnt 0x0
	v_ashrrev_i32_e32 v87, 31, v86
	s_delay_alu instid0(VALU_DEP_1)
	v_lshrrev_b64 v[86:87], 2, v[86:87]
.LBB4_959:                              ;   in Loop: Header=BB4_939 Depth=3
	s_wait_xcnt 0x0
	s_or_b32 exec_lo, exec_lo, s60
	s_delay_alu instid0(SALU_CYCLE_1)
	s_or_not1_b32 s13, vcc_lo, exec_lo
.LBB4_960:                              ;   in Loop: Header=BB4_939 Depth=3
	s_or_b32 exec_lo, exec_lo, s41
	s_and_saveexec_b32 s41, s13
; %bb.961:                              ;   in Loop: Header=BB4_939 Depth=3
	v_mul_u64_e32 v[86:87], v[10:11], v[22:23]
; %bb.962:                              ;   in Loop: Header=BB4_939 Depth=3
	s_or_b32 exec_lo, exec_lo, s41
	v_cmp_eq_u32_e32 vcc_lo, 0, v2
	v_and_b32_e32 v101, 0x2000, v30
	s_delay_alu instid0(VALU_DEP_3) | instskip(SKIP_2) | instid1(VALU_DEP_1)
	v_lshl_add_u64 v[10:11], v[86:87], 2, v[24:25]
	s_mov_b32 s13, exec_lo
	v_cndmask_b32_e32 v2, 0xd0, v59, vcc_lo
	v_add_nc_u32_e32 v2, v0, v2
	ds_store_b64 v2, v[10:11] offset:584
	v_cmpx_ne_u32_e32 0, v101
	s_cbranch_execz .LBB4_964
; %bb.963:                              ;   in Loop: Header=BB4_939 Depth=3
	ds_load_b64 v[10:11], v0 offset:872
	s_wait_dscnt 0x0
	v_add_nc_u64_e32 v[10:11], 1, v[10:11]
	ds_store_b64 v0, v[10:11] offset:872
.LBB4_964:                              ;   in Loop: Header=BB4_939 Depth=3
	s_or_b32 exec_lo, exec_lo, s13
	v_mov_b64_e32 v[86:87], v[8:9]
.LBB4_965:                              ;   in Loop: Header=BB4_939 Depth=3
	s_or_b32 exec_lo, exec_lo, s40
	s_xor_b32 s13, s27, -1
	s_delay_alu instid0(SALU_CYCLE_1) | instskip(NEXT) | instid1(SALU_CYCLE_1)
	s_and_b32 s13, exec_lo, s13
	s_or_b32 s15, s13, s15
	s_and_saveexec_b32 s13, s2
	s_cbranch_execz .LBB4_984
; %bb.966:                              ;   in Loop: Header=BB4_939 Depth=3
	s_and_saveexec_b32 s27, s3
	s_delay_alu instid0(SALU_CYCLE_1)
	s_xor_b32 s27, exec_lo, s27
	s_cbranch_execz .LBB4_981
; %bb.967:                              ;   in Loop: Header=BB4_939 Depth=3
	s_and_saveexec_b32 s40, s6
	s_cbranch_execz .LBB4_980
; %bb.968:                              ;   in Loop: Header=BB4_939 Depth=3
	s_mov_b32 s60, exec_lo
	s_mov_b32 s41, exec_lo
	v_mbcnt_lo_u32_b32 v2, s60, 0
	global_wb scope:SCOPE_DEV
	s_wait_storecnt 0x0
	s_wait_loadcnt_dscnt 0x0
	global_inv scope:SCOPE_DEV
	v_cmpx_eq_u32_e32 0, v2
	s_cbranch_execz .LBB4_970
; %bb.969:                              ;   in Loop: Header=BB4_939 Depth=3
	s_bcnt1_i32_b32 s60, s60
	s_delay_alu instid0(SALU_CYCLE_1)
	v_mov_b32_e32 v2, s60
	s_wait_loadcnt 0x0
	ds_add_u64 v0, v[2:3]
	s_trap 2
.LBB4_970:                              ;   in Loop: Header=BB4_939 Depth=3
	s_or_b32 exec_lo, exec_lo, s41
	s_trap 2
	ds_load_b64 v[8:9], v0
	s_wait_dscnt 0x0
	v_add_nc_u64_e32 v[12:13], v[12:13], v[32:33]
	s_mov_b32 s41, exec_lo
	s_delay_alu instid0(VALU_DEP_1)
	v_cmpx_lt_u64_e64 v[8:9], v[12:13]
	s_cbranch_execz .LBB4_979
; %bb.971:                              ;   in Loop: Header=BB4_939 Depth=3
	s_mov_b32 s60, 0
	s_mov_b32 s63, 0
                                        ; implicit-def: $sgpr61
                                        ; implicit-def: $sgpr62
	s_branch .LBB4_973
.LBB4_972:                              ;   in Loop: Header=BB4_973 Depth=4
	s_or_b32 exec_lo, exec_lo, s73
	s_delay_alu instid0(SALU_CYCLE_1) | instskip(NEXT) | instid1(SALU_CYCLE_1)
	s_and_b32 s72, exec_lo, s74
	s_or_b32 s60, s72, s60
	s_and_not1_b32 s61, s61, exec_lo
	s_and_b32 s72, s62, exec_lo
	s_delay_alu instid0(SALU_CYCLE_1)
	s_or_b32 s61, s61, s72
	s_and_not1_b32 exec_lo, exec_lo, s60
	s_cbranch_execz .LBB4_977
.LBB4_973:                              ;   Parent Loop BB4_47 Depth=1
                                        ;     Parent Loop BB4_755 Depth=2
                                        ;       Parent Loop BB4_939 Depth=3
                                        ; =>      This Inner Loop Header: Depth=4
	s_add_co_i32 s63, s63, 1
	s_delay_alu instid0(SALU_CYCLE_1) | instskip(SKIP_1) | instid1(SALU_CYCLE_1)
	s_cmp_lg_u32 s63, 0x2710
	s_cselect_b32 s72, -1, 0
	s_and_b32 vcc_lo, exec_lo, s72
	s_cbranch_vccz .LBB4_975
; %bb.974:                              ;   in Loop: Header=BB4_973 Depth=4
	s_mov_b32 s74, -1
	s_or_b32 s62, s62, exec_lo
	s_and_saveexec_b32 s73, s72
	s_cbranch_execz .LBB4_972
	s_branch .LBB4_976
.LBB4_975:                              ;   in Loop: Header=BB4_973 Depth=4
	s_trap 2
	ds_load_b64 v[8:9], v0
	s_and_not1_b32 s72, s72, exec_lo
	s_mov_b32 s63, 0
	s_wait_loadcnt_dscnt 0x0
	flat_load_b32 v2, v[8:9] scope:SCOPE_SYS
	s_wait_loadcnt_dscnt 0x0
	global_inv scope:SCOPE_SYS
	v_cmp_eq_u32_e32 vcc_lo, 0, v2
	s_and_b32 s73, vcc_lo, exec_lo
	s_delay_alu instid0(SALU_CYCLE_1)
	s_or_b32 s72, s72, s73
	s_mov_b32 s74, -1
	s_or_b32 s62, s62, exec_lo
	s_and_saveexec_b32 s73, s72
	s_cbranch_execz .LBB4_972
.LBB4_976:                              ;   in Loop: Header=BB4_973 Depth=4
	s_sleep 1
	s_trap 2
	ds_load_b64 v[8:9], v0
	s_wait_dscnt 0x0
	s_and_not1_b32 s62, s62, exec_lo
	v_cmp_ge_u64_e32 vcc_lo, v[8:9], v[12:13]
	s_or_not1_b32 s74, vcc_lo, exec_lo
	s_branch .LBB4_972
.LBB4_977:                              ;   in Loop: Header=BB4_939 Depth=3
	s_or_b32 exec_lo, exec_lo, s60
	s_and_saveexec_b32 s60, s61
	s_delay_alu instid0(SALU_CYCLE_1)
	s_xor_b32 s60, exec_lo, s60
	s_cbranch_execz .LBB4_979
; %bb.978:                              ;   in Loop: Header=BB4_939 Depth=3
	ds_store_b32 v0, v57
	s_trap 2
.LBB4_979:                              ;   in Loop: Header=BB4_939 Depth=3
	s_or_b32 exec_lo, exec_lo, s41
	;;#ASMSTART
	s_wakeup
	;;#ASMEND
.LBB4_980:                              ;   in Loop: Header=BB4_939 Depth=3
	s_or_b32 exec_lo, exec_lo, s40
.LBB4_981:                              ;   in Loop: Header=BB4_939 Depth=3
	s_and_not1_saveexec_b32 s27, s27
	s_cbranch_execz .LBB4_983
; %bb.982:                              ;   in Loop: Header=BB4_939 Depth=3
	global_wb scope:SCOPE_DEV
	s_wait_storecnt 0x0
	s_wait_loadcnt_dscnt 0x0
	global_inv scope:SCOPE_DEV
	s_barrier_signal -1
	s_barrier_wait -1
.LBB4_983:                              ;   in Loop: Header=BB4_939 Depth=3
	s_or_b32 exec_lo, exec_lo, s27
.LBB4_984:                              ;   in Loop: Header=BB4_939 Depth=3
	s_delay_alu instid0(SALU_CYCLE_1) | instskip(SKIP_1) | instid1(SALU_CYCLE_1)
	s_or_b32 exec_lo, exec_lo, s13
                                        ; implicit-def: $vgpr2
	s_and_saveexec_b32 s13, s10
	s_xor_b32 s27, exec_lo, s13
	s_cbranch_execz .LBB4_988
; %bb.985:                              ;   in Loop: Header=BB4_939 Depth=3
	s_trap 2
	ds_load_b32 v2, v0
	v_cmp_lt_i32_e32 vcc_lo, 0, v100
	s_wait_dscnt 0x0
	v_readfirstlane_b32 s13, v2
	v_and_b32_e32 v2, 16, v30
	s_cmp_eq_u32 s13, 0
	s_delay_alu instid0(VALU_DEP_1) | instskip(SKIP_3) | instid1(SALU_CYCLE_1)
	v_cmp_ne_u32_e64 s13, 0, v2
	s_cselect_b32 s40, -1, 0
	v_and_b32_e32 v2, 16, v30
	s_and_b32 s40, vcc_lo, s40
	s_and_b32 s40, s13, s40
	s_delay_alu instid0(SALU_CYCLE_1)
	s_and_saveexec_b32 s13, s40
	s_cbranch_execz .LBB4_987
; %bb.986:                              ;   in Loop: Header=BB4_939 Depth=3
	v_mov_b32_e32 v2, 1
	global_wb scope:SCOPE_SYS
	s_wait_loadcnt 0x0
	s_wait_storecnt 0x0
	global_inv scope:SCOPE_SYS
.LBB4_987:                              ;   in Loop: Header=BB4_939 Depth=3
	s_or_b32 exec_lo, exec_lo, s13
	s_and_not1_saveexec_b32 s13, s27
	s_cbranch_execz .LBB4_1007
	s_branch .LBB4_989
.LBB4_988:                              ;   in Loop: Header=BB4_939 Depth=3
	s_and_not1_saveexec_b32 s13, s27
	s_cbranch_execz .LBB4_1007
.LBB4_989:                              ;   in Loop: Header=BB4_939 Depth=3
	s_and_saveexec_b32 s27, s3
	s_delay_alu instid0(SALU_CYCLE_1)
	s_xor_b32 s27, exec_lo, s27
	s_cbranch_execz .LBB4_1004
; %bb.990:                              ;   in Loop: Header=BB4_939 Depth=3
	s_and_saveexec_b32 s40, s6
	s_cbranch_execz .LBB4_1003
; %bb.991:                              ;   in Loop: Header=BB4_939 Depth=3
	s_mov_b32 s60, exec_lo
	s_mov_b32 s41, exec_lo
	v_mbcnt_lo_u32_b32 v2, s60, 0
	;;#ASMSTART
	s_waitcnt lgkmcnt(0) vmcnt(0)
	;;#ASMEND
	s_delay_alu instid0(VALU_DEP_1)
	v_cmpx_eq_u32_e32 0, v2
	s_cbranch_execz .LBB4_993
; %bb.992:                              ;   in Loop: Header=BB4_939 Depth=3
	s_bcnt1_i32_b32 s60, s60
	s_delay_alu instid0(SALU_CYCLE_1)
	v_mov_b32_e32 v2, s60
	s_wait_storecnt 0x0
	s_wait_loadcnt_dscnt 0x0
	ds_add_u64 v0, v[2:3]
	s_trap 2
.LBB4_993:                              ;   in Loop: Header=BB4_939 Depth=3
	s_or_b32 exec_lo, exec_lo, s41
	s_trap 2
	ds_load_b64 v[8:9], v0
	s_wait_dscnt 0x0
	v_add_nc_u64_e32 v[12:13], v[12:13], v[32:33]
	s_mov_b32 s41, exec_lo
	s_delay_alu instid0(VALU_DEP_1)
	v_cmpx_lt_u64_e64 v[8:9], v[12:13]
	s_cbranch_execz .LBB4_1002
; %bb.994:                              ;   in Loop: Header=BB4_939 Depth=3
	s_mov_b32 s60, 0
	s_mov_b32 s63, 0
                                        ; implicit-def: $sgpr61
                                        ; implicit-def: $sgpr62
	s_branch .LBB4_996
.LBB4_995:                              ;   in Loop: Header=BB4_996 Depth=4
	s_or_b32 exec_lo, exec_lo, s73
	s_delay_alu instid0(SALU_CYCLE_1) | instskip(NEXT) | instid1(SALU_CYCLE_1)
	s_and_b32 s72, exec_lo, s74
	s_or_b32 s60, s72, s60
	s_and_not1_b32 s61, s61, exec_lo
	s_and_b32 s72, s62, exec_lo
	s_delay_alu instid0(SALU_CYCLE_1)
	s_or_b32 s61, s61, s72
	s_and_not1_b32 exec_lo, exec_lo, s60
	s_cbranch_execz .LBB4_1000
.LBB4_996:                              ;   Parent Loop BB4_47 Depth=1
                                        ;     Parent Loop BB4_755 Depth=2
                                        ;       Parent Loop BB4_939 Depth=3
                                        ; =>      This Inner Loop Header: Depth=4
	s_add_co_i32 s63, s63, 1
	s_delay_alu instid0(SALU_CYCLE_1) | instskip(SKIP_1) | instid1(SALU_CYCLE_1)
	s_cmp_lg_u32 s63, 0x2710
	s_cselect_b32 s72, -1, 0
	s_and_b32 vcc_lo, exec_lo, s72
	s_cbranch_vccz .LBB4_998
; %bb.997:                              ;   in Loop: Header=BB4_996 Depth=4
	s_mov_b32 s74, -1
	s_or_b32 s62, s62, exec_lo
	s_and_saveexec_b32 s73, s72
	s_cbranch_execz .LBB4_995
	s_branch .LBB4_999
.LBB4_998:                              ;   in Loop: Header=BB4_996 Depth=4
	s_trap 2
	ds_load_b64 v[8:9], v0
	s_and_not1_b32 s72, s72, exec_lo
	s_mov_b32 s63, 0
	s_wait_storecnt 0x0
	s_wait_loadcnt_dscnt 0x0
	flat_load_b32 v2, v[8:9] scope:SCOPE_SYS
	s_wait_loadcnt_dscnt 0x0
	global_inv scope:SCOPE_SYS
	v_cmp_eq_u32_e32 vcc_lo, 0, v2
	s_and_b32 s73, vcc_lo, exec_lo
	s_delay_alu instid0(SALU_CYCLE_1)
	s_or_b32 s72, s72, s73
	s_mov_b32 s74, -1
	s_or_b32 s62, s62, exec_lo
	s_and_saveexec_b32 s73, s72
	s_cbranch_execz .LBB4_995
.LBB4_999:                              ;   in Loop: Header=BB4_996 Depth=4
	s_sleep 1
	s_trap 2
	ds_load_b64 v[8:9], v0
	s_wait_dscnt 0x0
	s_and_not1_b32 s62, s62, exec_lo
	v_cmp_ge_u64_e32 vcc_lo, v[8:9], v[12:13]
	s_or_not1_b32 s74, vcc_lo, exec_lo
	s_branch .LBB4_995
.LBB4_1000:                             ;   in Loop: Header=BB4_939 Depth=3
	s_or_b32 exec_lo, exec_lo, s60
	s_and_saveexec_b32 s60, s61
	s_delay_alu instid0(SALU_CYCLE_1)
	s_xor_b32 s60, exec_lo, s60
	s_cbranch_execz .LBB4_1002
; %bb.1001:                             ;   in Loop: Header=BB4_939 Depth=3
	ds_store_b32 v0, v57
	s_trap 2
.LBB4_1002:                             ;   in Loop: Header=BB4_939 Depth=3
	s_or_b32 exec_lo, exec_lo, s41
	;;#ASMSTART
	s_wakeup
	;;#ASMEND
.LBB4_1003:                             ;   in Loop: Header=BB4_939 Depth=3
	s_or_b32 exec_lo, exec_lo, s40
.LBB4_1004:                             ;   in Loop: Header=BB4_939 Depth=3
	s_and_not1_saveexec_b32 s27, s27
	s_cbranch_execz .LBB4_1006
; %bb.1005:                             ;   in Loop: Header=BB4_939 Depth=3
	;;#ASMSTART
	s_waitcnt lgkmcnt(0) vmcnt(0)
	;;#ASMEND
	s_barrier_signal -1
	s_barrier_wait -1
.LBB4_1006:                             ;   in Loop: Header=BB4_939 Depth=3
	s_or_b32 exec_lo, exec_lo, s27
	v_and_b32_e32 v2, 16, v30
.LBB4_1007:                             ;   in Loop: Header=BB4_939 Depth=3
	s_or_b32 exec_lo, exec_lo, s13
	s_delay_alu instid0(VALU_DEP_1) | instskip(SKIP_1) | instid1(SALU_CYCLE_1)
	v_cmp_ne_u32_e32 vcc_lo, 0, v2
	s_xor_b32 s13, s4, -1
	s_and_b32 s27, vcc_lo, s13
	s_delay_alu instid0(SALU_CYCLE_1)
	s_and_saveexec_b32 s13, s27
	s_cbranch_execz .LBB4_1009
; %bb.1008:                             ;   in Loop: Header=BB4_939 Depth=3
	global_wb scope:SCOPE_SYS
	s_wait_storecnt 0x0
	s_wait_loadcnt_dscnt 0x0
	flat_store_b32 v[26:27], v57 scope:SCOPE_SYS
.LBB4_1009:                             ;   in Loop: Header=BB4_939 Depth=3
	s_wait_xcnt 0x0
	s_or_b32 exec_lo, exec_lo, s13
	v_and_b32_e32 v2, 48, v30
	s_mov_b32 s13, exec_lo
	s_delay_alu instid0(VALU_DEP_1)
	v_cmpx_ne_u32_e32 0, v2
	s_cbranch_execz .LBB4_938
; %bb.1010:                             ;   in Loop: Header=BB4_939 Depth=3
	v_add_nc_u64_e32 v[86:87], 2, v[86:87]
	global_wb scope:SCOPE_SYS
	s_wait_storecnt 0x0
	s_wait_loadcnt_dscnt 0x0
	flat_store_b64 v[20:21], v[86:87] scope:SCOPE_SYS
	s_branch .LBB4_938
.LBB4_1011:                             ;   in Loop: Header=BB4_755 Depth=2
	s_or_b32 exec_lo, exec_lo, s15
.LBB4_1012:                             ;   in Loop: Header=BB4_755 Depth=2
	s_delay_alu instid0(SALU_CYCLE_1)
	s_or_b32 exec_lo, exec_lo, s14
	s_add_co_i32 s13, s18, 1
	s_cmp_eq_u32 s18, s56
	s_cbranch_scc1 .LBB4_1014
; %bb.1013:                             ;   in Loop: Header=BB4_755 Depth=2
	s_mov_b32 s18, s13
	s_branch .LBB4_755
.LBB4_1014:                             ;   in Loop: Header=BB4_47 Depth=1
	v_mul_u64_e32 v[10:11], s[28:29], v[84:85]
	s_delay_alu instid0(VALU_DEP_1) | instskip(NEXT) | instid1(VALU_DEP_1)
	v_sub_nc_u64_e32 v[8:9], v[96:97], v[10:11]
	v_min_i64 v[8:9], v[84:85], v[8:9]
	s_delay_alu instid0(VALU_DEP_1) | instskip(SKIP_1) | instid1(VALU_DEP_2)
	v_max_i32_e32 v114, 0, v8
	v_cmp_lt_i32_e32 vcc_lo, 0, v8
	v_dual_mov_b32 v8, 0 :: v_dual_add_nc_u32 v2, 31, v114
	s_and_b32 s13, s57, vcc_lo
	s_delay_alu instid0(VALU_DEP_1) | instskip(NEXT) | instid1(VALU_DEP_1)
	v_lshrrev_b32_e32 v2, 1, v2
	v_and_b32_e32 v9, 0x3ffffff0, v2
	s_delay_alu instid0(VALU_DEP_1)
	v_dual_mov_b32 v2, 0 :: v_dual_max_i32 v115, s45, v9
	s_and_saveexec_b32 s14, s13
	s_cbranch_execz .LBB4_1154
; %bb.1015:                             ;   in Loop: Header=BB4_47 Depth=1
	v_add_nc_u64_e32 v[8:9], v[10:11], v[98:99]
	s_mov_b32 s27, 1
	s_mov_b32 s18, -1
	s_mov_b32 s15, 0
	s_delay_alu instid0(VALU_DEP_1)
	v_lshlrev_b64_e32 v[10:11], 2, v[8:9]
	v_mov_b32_e32 v8, 0
	s_branch .LBB4_1017
.LBB4_1016:                             ;   in Loop: Header=BB4_1017 Depth=2
	s_wait_xcnt 0x0
	s_or_b32 exec_lo, exec_lo, s13
	v_dual_add_nc_u32 v8, v115, v8 :: v_dual_mov_b32 v2, s27
	s_xor_b32 s13, s18, -1
	s_mov_b32 s18, 0
	s_mov_b32 s27, 2
	s_delay_alu instid0(VALU_DEP_1) | instskip(SKIP_1) | instid1(SALU_CYCLE_1)
	v_cmp_ge_i32_e32 vcc_lo, v8, v114
	s_or_b32 s13, s13, vcc_lo
	s_and_b32 s13, exec_lo, s13
	s_delay_alu instid0(SALU_CYCLE_1) | instskip(NEXT) | instid1(SALU_CYCLE_1)
	s_or_b32 s15, s13, s15
	s_and_not1_b32 exec_lo, exec_lo, s15
	s_cbranch_execz .LBB4_1153
.LBB4_1017:                             ;   Parent Loop BB4_47 Depth=1
                                        ; =>  This Loop Header: Depth=2
                                        ;       Child Loop BB4_1025 Depth 3
                                        ;       Child Loop BB4_1049 Depth 3
	;; [unrolled: 1-line block ×9, first 2 shown]
	s_and_saveexec_b32 s13, s0
	s_cbranch_execz .LBB4_1019
; %bb.1018:                             ;   in Loop: Header=BB4_1017 Depth=2
	s_trap 2
	ds_load_b128 v[96:99], v0
	s_wait_dscnt 0x0
	v_cmp_ne_u64_e32 vcc_lo, 0, v[98:99]
	v_ashrrev_i32_e32 v9, 31, v8
	v_add_nc_u64_e32 v[102:103], v[98:99], v[10:11]
	v_add_nc_u64_e32 v[96:97], v[96:97], v[10:11]
	s_delay_alu instid0(VALU_DEP_3) | instskip(NEXT) | instid1(VALU_DEP_1)
	v_lshlrev_b64_e32 v[100:101], 2, v[8:9]
	v_add_nc_u64_e32 v[102:103], v[102:103], v[100:101]
	s_delay_alu instid0(VALU_DEP_3) | instskip(NEXT) | instid1(VALU_DEP_2)
	v_add_nc_u64_e32 v[96:97], v[96:97], v[100:101]
	v_dual_cndmask_b32 v99, 0, v103 :: v_dual_cndmask_b32 v98, 0, v102
	ds_store_b64 v0, v[96:97]
	ds_store_b64 v0, v[98:99]
.LBB4_1019:                             ;   in Loop: Header=BB4_1017 Depth=2
	s_or_b32 exec_lo, exec_lo, s13
	v_and_b32_e32 v2, 4, v30
	s_mov_b32 s40, exec_lo
	s_delay_alu instid0(VALU_DEP_1)
	v_cmpx_ne_u32_e32 0, v2
	s_cbranch_execz .LBB4_1041
; %bb.1020:                             ;   in Loop: Header=BB4_1017 Depth=2
	v_add_nc_u64_e32 v[96:97], 2, v[86:87]
	s_mov_b32 s41, exec_lo
	s_wait_loadcnt_dscnt 0x1
	s_delay_alu instid0(VALU_DEP_1)
	v_cmpx_lt_u64_e64 v[28:29], v[96:97]
	s_cbranch_execz .LBB4_1032
; %bb.1021:                             ;   in Loop: Header=BB4_1017 Depth=2
	v_and_b32_e32 v2, 64, v30
	s_mov_b32 s60, 0
	s_mov_b32 s72, 0
                                        ; implicit-def: $sgpr61
                                        ; implicit-def: $sgpr62
                                        ; implicit-def: $sgpr63
	s_delay_alu instid0(VALU_DEP_1)
	v_cmp_eq_u32_e32 vcc_lo, 0, v2
	s_branch .LBB4_1025
.LBB4_1022:                             ;   in Loop: Header=BB4_1025 Depth=3
	s_wait_loadcnt_dscnt 0x0
	v_cmp_ge_u64_e64 s13, v[28:29], v[96:97]
	s_or_b32 s75, s75, exec_lo
	s_or_not1_b32 s74, s13, exec_lo
.LBB4_1023:                             ;   in Loop: Header=BB4_1025 Depth=3
	s_or_b32 exec_lo, exec_lo, s77
	s_delay_alu instid0(SALU_CYCLE_1)
	s_and_not1_b32 s13, s63, exec_lo
	s_and_b32 s63, s75, exec_lo
	s_and_not1_b32 s62, s62, exec_lo
	s_and_b32 s74, s74, exec_lo
	s_or_b32 s63, s13, s63
	s_or_b32 s62, s62, s74
.LBB4_1024:                             ;   in Loop: Header=BB4_1025 Depth=3
	s_or_b32 exec_lo, exec_lo, s73
	s_delay_alu instid0(SALU_CYCLE_1) | instskip(NEXT) | instid1(SALU_CYCLE_1)
	s_and_b32 s13, exec_lo, s62
	s_or_b32 s60, s13, s60
	s_and_not1_b32 s13, s61, exec_lo
	s_and_b32 s61, s63, exec_lo
	s_delay_alu instid0(SALU_CYCLE_1)
	s_or_b32 s61, s13, s61
	s_and_not1_b32 exec_lo, exec_lo, s60
	s_cbranch_execz .LBB4_1029
.LBB4_1025:                             ;   Parent Loop BB4_47 Depth=1
                                        ;     Parent Loop BB4_1017 Depth=2
                                        ; =>    This Inner Loop Header: Depth=3
	s_sleep 1
	s_wait_loadcnt_dscnt 0x0
	flat_load_b64 v[28:29], v[20:21] scope:SCOPE_SYS
	s_or_b32 s63, s63, exec_lo
	s_or_b32 s62, s62, exec_lo
                                        ; implicit-def: $vgpr2
	s_wait_xcnt 0x0
	s_and_saveexec_b32 s73, vcc_lo
	s_cbranch_execz .LBB4_1024
; %bb.1026:                             ;   in Loop: Header=BB4_1025 Depth=3
	s_cmp_lt_i32 s72, 0x270f
	s_mov_b32 s74, -1
	s_cselect_b32 s76, -1, 0
	s_cmp_gt_i32 s72, 0x270e
	s_cbranch_scc0 .LBB4_1028
; %bb.1027:                             ;   in Loop: Header=BB4_1025 Depth=3
	s_trap 2
	ds_load_b64 v[98:99], v0
	s_and_not1_b32 s72, s76, exec_lo
	s_mov_b32 s75, 0
	s_wait_storecnt 0x0
	s_wait_loadcnt_dscnt 0x0
	flat_load_b32 v2, v[98:99] scope:SCOPE_SYS
	s_wait_loadcnt_dscnt 0x0
	global_inv scope:SCOPE_SYS
	v_cmp_eq_u32_e64 s13, 0, v2
	s_and_b32 s13, s13, exec_lo
	s_delay_alu instid0(SALU_CYCLE_1)
	s_or_b32 s76, s72, s13
	s_mov_b32 s72, 0
	s_and_saveexec_b32 s77, s76
	s_cbranch_execz .LBB4_1023
	s_branch .LBB4_1022
.LBB4_1028:                             ;   in Loop: Header=BB4_1025 Depth=3
	s_add_co_i32 s72, s72, 1
	s_mov_b32 s75, -1
                                        ; implicit-def: $vgpr2
	s_and_saveexec_b32 s77, s76
	s_cbranch_execz .LBB4_1023
	s_branch .LBB4_1022
.LBB4_1029:                             ;   in Loop: Header=BB4_1017 Depth=2
	s_or_b32 exec_lo, exec_lo, s60
	s_xor_b32 s13, s61, -1
	s_delay_alu instid0(SALU_CYCLE_1) | instskip(NEXT) | instid1(SALU_CYCLE_1)
	s_and_saveexec_b32 s60, s13
	s_xor_b32 s13, exec_lo, s60
	s_cbranch_execz .LBB4_1031
; %bb.1030:                             ;   in Loop: Header=BB4_1017 Depth=2
	v_or_b32_e32 v30, 64, v30
	s_wait_storecnt 0x0
	s_wait_loadcnt_dscnt 0x0
	ds_store_b32 v0, v2
	s_trap 2
.LBB4_1031:                             ;   in Loop: Header=BB4_1017 Depth=2
	s_or_b32 exec_lo, exec_lo, s13
.LBB4_1032:                             ;   in Loop: Header=BB4_1017 Depth=2
	s_delay_alu instid0(SALU_CYCLE_1) | instskip(SKIP_3) | instid1(VALU_DEP_1)
	s_or_b32 exec_lo, exec_lo, s41
	v_and_b32_e32 v2, 0x100, v30
	s_mov_b32 s13, -1
	;;#ASMSTART
	s_wakeup
	;;#ASMEND
	v_cmp_ne_u32_e32 vcc_lo, 0, v2
	v_and_b32_e32 v2, 7, v86
                                        ; implicit-def: $vgpr86_vgpr87
	s_and_saveexec_b32 s41, vcc_lo
	s_cbranch_execz .LBB4_1036
; %bb.1033:                             ;   in Loop: Header=BB4_1017 Depth=2
	s_delay_alu instid0(VALU_DEP_1)
	v_mad_nc_u64_u32 v[98:99], v2, 24, v[6:7]
	s_mov_b32 s60, exec_lo
                                        ; implicit-def: $vgpr86_vgpr87
	flat_load_b32 v9, v[98:99]
	s_wait_loadcnt_dscnt 0x0
	v_cmp_ne_u32_e32 vcc_lo, 1, v9
	s_wait_xcnt 0x0
	v_cmpx_eq_u32_e32 1, v9
	s_cbranch_execz .LBB4_1035
; %bb.1034:                             ;   in Loop: Header=BB4_1017 Depth=2
	flat_load_b32 v86, v[98:99] offset:4 scope:SCOPE_SYS
	s_wait_loadcnt_dscnt 0x0
	v_ashrrev_i32_e32 v87, 31, v86
	s_delay_alu instid0(VALU_DEP_1)
	v_lshrrev_b64 v[86:87], 2, v[86:87]
.LBB4_1035:                             ;   in Loop: Header=BB4_1017 Depth=2
	s_wait_xcnt 0x0
	s_or_b32 exec_lo, exec_lo, s60
	s_delay_alu instid0(SALU_CYCLE_1)
	s_or_not1_b32 s13, vcc_lo, exec_lo
.LBB4_1036:                             ;   in Loop: Header=BB4_1017 Depth=2
	s_or_b32 exec_lo, exec_lo, s41
	s_and_saveexec_b32 s41, s13
; %bb.1037:                             ;   in Loop: Header=BB4_1017 Depth=2
	v_mul_u64_e32 v[86:87], v[2:3], v[22:23]
; %bb.1038:                             ;   in Loop: Header=BB4_1017 Depth=2
	s_or_b32 exec_lo, exec_lo, s41
	v_and_b32_e32 v2, 0x2000, v30
	s_delay_alu instid0(VALU_DEP_2)
	v_lshl_add_u64 v[86:87], v[86:87], 2, v[24:25]
	s_mov_b32 s13, exec_lo
	ds_store_b64 v0, v[86:87] offset:720
	v_cmpx_ne_u32_e32 0, v2
	s_cbranch_execz .LBB4_1040
; %bb.1039:                             ;   in Loop: Header=BB4_1017 Depth=2
	ds_load_b64 v[86:87], v0 offset:872
	s_wait_dscnt 0x0
	v_add_nc_u64_e32 v[86:87], 1, v[86:87]
	ds_store_b64 v0, v[86:87] offset:872
.LBB4_1040:                             ;   in Loop: Header=BB4_1017 Depth=2
	s_or_b32 exec_lo, exec_lo, s13
	v_mov_b64_e32 v[86:87], v[96:97]
.LBB4_1041:                             ;   in Loop: Header=BB4_1017 Depth=2
	s_or_b32 exec_lo, exec_lo, s40
	s_and_saveexec_b32 s13, s2
	s_cbranch_execz .LBB4_1060
; %bb.1042:                             ;   in Loop: Header=BB4_1017 Depth=2
	s_and_saveexec_b32 s40, s3
	s_delay_alu instid0(SALU_CYCLE_1)
	s_xor_b32 s40, exec_lo, s40
	s_cbranch_execz .LBB4_1057
; %bb.1043:                             ;   in Loop: Header=BB4_1017 Depth=2
	s_and_saveexec_b32 s41, s6
	s_cbranch_execz .LBB4_1056
; %bb.1044:                             ;   in Loop: Header=BB4_1017 Depth=2
	s_mov_b32 s61, exec_lo
	s_mov_b32 s60, exec_lo
	v_mbcnt_lo_u32_b32 v2, s61, 0
	global_wb scope:SCOPE_DEV
	s_wait_storecnt 0x0
	s_wait_loadcnt_dscnt 0x0
	global_inv scope:SCOPE_DEV
	v_cmpx_eq_u32_e32 0, v2
	s_cbranch_execz .LBB4_1046
; %bb.1045:                             ;   in Loop: Header=BB4_1017 Depth=2
	s_bcnt1_i32_b32 s61, s61
	s_delay_alu instid0(SALU_CYCLE_1)
	v_mov_b32_e32 v2, s61
	s_wait_loadcnt 0x0
	ds_add_u64 v0, v[2:3]
	s_trap 2
.LBB4_1046:                             ;   in Loop: Header=BB4_1017 Depth=2
	s_or_b32 exec_lo, exec_lo, s60
	s_trap 2
	ds_load_b64 v[96:97], v0
	s_wait_dscnt 0x0
	v_add_nc_u64_e32 v[12:13], v[12:13], v[32:33]
	s_mov_b32 s60, exec_lo
	s_delay_alu instid0(VALU_DEP_1)
	v_cmpx_lt_u64_e64 v[96:97], v[12:13]
	s_cbranch_execz .LBB4_1055
; %bb.1047:                             ;   in Loop: Header=BB4_1017 Depth=2
	s_mov_b32 s61, 0
	s_mov_b32 s72, 0
                                        ; implicit-def: $sgpr62
                                        ; implicit-def: $sgpr63
	s_branch .LBB4_1049
.LBB4_1048:                             ;   in Loop: Header=BB4_1049 Depth=3
	s_or_b32 exec_lo, exec_lo, s74
	s_delay_alu instid0(SALU_CYCLE_1) | instskip(NEXT) | instid1(SALU_CYCLE_1)
	s_and_b32 s73, exec_lo, s75
	s_or_b32 s61, s73, s61
	s_and_not1_b32 s62, s62, exec_lo
	s_and_b32 s73, s63, exec_lo
	s_delay_alu instid0(SALU_CYCLE_1)
	s_or_b32 s62, s62, s73
	s_and_not1_b32 exec_lo, exec_lo, s61
	s_cbranch_execz .LBB4_1053
.LBB4_1049:                             ;   Parent Loop BB4_47 Depth=1
                                        ;     Parent Loop BB4_1017 Depth=2
                                        ; =>    This Inner Loop Header: Depth=3
	s_add_co_i32 s72, s72, 1
	s_delay_alu instid0(SALU_CYCLE_1) | instskip(SKIP_1) | instid1(SALU_CYCLE_1)
	s_cmp_lg_u32 s72, 0x2710
	s_cselect_b32 s73, -1, 0
	s_and_b32 vcc_lo, exec_lo, s73
	s_cbranch_vccz .LBB4_1051
; %bb.1050:                             ;   in Loop: Header=BB4_1049 Depth=3
	s_mov_b32 s75, -1
	s_or_b32 s63, s63, exec_lo
	s_and_saveexec_b32 s74, s73
	s_cbranch_execz .LBB4_1048
	s_branch .LBB4_1052
.LBB4_1051:                             ;   in Loop: Header=BB4_1049 Depth=3
	s_trap 2
	ds_load_b64 v[96:97], v0
	s_and_not1_b32 s73, s73, exec_lo
	s_mov_b32 s72, 0
	s_wait_loadcnt_dscnt 0x0
	flat_load_b32 v2, v[96:97] scope:SCOPE_SYS
	s_wait_loadcnt_dscnt 0x0
	global_inv scope:SCOPE_SYS
	v_cmp_eq_u32_e32 vcc_lo, 0, v2
	s_and_b32 s74, vcc_lo, exec_lo
	s_delay_alu instid0(SALU_CYCLE_1)
	s_or_b32 s73, s73, s74
	s_mov_b32 s75, -1
	s_or_b32 s63, s63, exec_lo
	s_and_saveexec_b32 s74, s73
	s_cbranch_execz .LBB4_1048
.LBB4_1052:                             ;   in Loop: Header=BB4_1049 Depth=3
	s_sleep 1
	s_trap 2
	ds_load_b64 v[96:97], v0
	s_wait_dscnt 0x0
	s_and_not1_b32 s63, s63, exec_lo
	v_cmp_ge_u64_e32 vcc_lo, v[96:97], v[12:13]
	s_or_not1_b32 s75, vcc_lo, exec_lo
	s_branch .LBB4_1048
.LBB4_1053:                             ;   in Loop: Header=BB4_1017 Depth=2
	s_or_b32 exec_lo, exec_lo, s61
	s_and_saveexec_b32 s61, s62
	s_delay_alu instid0(SALU_CYCLE_1)
	s_xor_b32 s61, exec_lo, s61
	s_cbranch_execz .LBB4_1055
; %bb.1054:                             ;   in Loop: Header=BB4_1017 Depth=2
	ds_store_b32 v0, v57
	s_trap 2
.LBB4_1055:                             ;   in Loop: Header=BB4_1017 Depth=2
	s_or_b32 exec_lo, exec_lo, s60
	;;#ASMSTART
	s_wakeup
	;;#ASMEND
.LBB4_1056:                             ;   in Loop: Header=BB4_1017 Depth=2
	s_or_b32 exec_lo, exec_lo, s41
.LBB4_1057:                             ;   in Loop: Header=BB4_1017 Depth=2
	s_and_not1_saveexec_b32 s40, s40
	s_cbranch_execz .LBB4_1059
; %bb.1058:                             ;   in Loop: Header=BB4_1017 Depth=2
	global_wb scope:SCOPE_DEV
	s_wait_storecnt 0x0
	s_wait_loadcnt_dscnt 0x0
	global_inv scope:SCOPE_DEV
	s_barrier_signal -1
	s_barrier_wait -1
.LBB4_1059:                             ;   in Loop: Header=BB4_1017 Depth=2
	s_or_b32 exec_lo, exec_lo, s40
.LBB4_1060:                             ;   in Loop: Header=BB4_1017 Depth=2
	s_delay_alu instid0(SALU_CYCLE_1) | instskip(SKIP_4) | instid1(VALU_DEP_1)
	s_or_b32 exec_lo, exec_lo, s13
	s_trap 2
	ds_load_b32 v9, v0
	v_and_b32_e32 v2, 0x4000, v30
	s_xor_b32 s13, s1, -1
	v_cmp_ne_u32_e32 vcc_lo, 0, v2
	s_and_b32 s40, s13, vcc_lo
	s_delay_alu instid0(SALU_CYCLE_1)
	s_and_saveexec_b32 s13, s40
	s_cbranch_execz .LBB4_1079
; %bb.1061:                             ;   in Loop: Header=BB4_1017 Depth=2
	s_and_saveexec_b32 s40, s3
	s_delay_alu instid0(SALU_CYCLE_1)
	s_xor_b32 s40, exec_lo, s40
	s_cbranch_execz .LBB4_1076
; %bb.1062:                             ;   in Loop: Header=BB4_1017 Depth=2
	s_and_saveexec_b32 s41, s6
	s_cbranch_execz .LBB4_1075
; %bb.1063:                             ;   in Loop: Header=BB4_1017 Depth=2
	s_mov_b32 s61, exec_lo
	s_mov_b32 s60, exec_lo
	v_mbcnt_lo_u32_b32 v2, s61, 0
	global_wb scope:SCOPE_DEV
	s_wait_storecnt 0x0
	s_wait_loadcnt_dscnt 0x0
	global_inv scope:SCOPE_DEV
	v_cmpx_eq_u32_e32 0, v2
	s_cbranch_execz .LBB4_1065
; %bb.1064:                             ;   in Loop: Header=BB4_1017 Depth=2
	s_bcnt1_i32_b32 s61, s61
	s_delay_alu instid0(SALU_CYCLE_1)
	v_mov_b32_e32 v2, s61
	s_wait_loadcnt 0x0
	ds_add_u64 v0, v[2:3]
	s_trap 2
.LBB4_1065:                             ;   in Loop: Header=BB4_1017 Depth=2
	s_or_b32 exec_lo, exec_lo, s60
	s_trap 2
	ds_load_b64 v[96:97], v0
	s_wait_dscnt 0x0
	v_add_nc_u64_e32 v[12:13], v[12:13], v[32:33]
	s_mov_b32 s60, exec_lo
	s_delay_alu instid0(VALU_DEP_1)
	v_cmpx_lt_u64_e64 v[96:97], v[12:13]
	s_cbranch_execz .LBB4_1074
; %bb.1066:                             ;   in Loop: Header=BB4_1017 Depth=2
	s_mov_b32 s61, 0
	s_mov_b32 s72, 0
                                        ; implicit-def: $sgpr62
                                        ; implicit-def: $sgpr63
	s_branch .LBB4_1068
.LBB4_1067:                             ;   in Loop: Header=BB4_1068 Depth=3
	s_or_b32 exec_lo, exec_lo, s74
	s_delay_alu instid0(SALU_CYCLE_1) | instskip(NEXT) | instid1(SALU_CYCLE_1)
	s_and_b32 s73, exec_lo, s75
	s_or_b32 s61, s73, s61
	s_and_not1_b32 s62, s62, exec_lo
	s_and_b32 s73, s63, exec_lo
	s_delay_alu instid0(SALU_CYCLE_1)
	s_or_b32 s62, s62, s73
	s_and_not1_b32 exec_lo, exec_lo, s61
	s_cbranch_execz .LBB4_1072
.LBB4_1068:                             ;   Parent Loop BB4_47 Depth=1
                                        ;     Parent Loop BB4_1017 Depth=2
                                        ; =>    This Inner Loop Header: Depth=3
	s_add_co_i32 s72, s72, 1
	s_delay_alu instid0(SALU_CYCLE_1) | instskip(SKIP_1) | instid1(SALU_CYCLE_1)
	s_cmp_lg_u32 s72, 0x2710
	s_cselect_b32 s73, -1, 0
	s_and_b32 vcc_lo, exec_lo, s73
	s_cbranch_vccz .LBB4_1070
; %bb.1069:                             ;   in Loop: Header=BB4_1068 Depth=3
	s_mov_b32 s75, -1
	s_or_b32 s63, s63, exec_lo
	s_and_saveexec_b32 s74, s73
	s_cbranch_execz .LBB4_1067
	s_branch .LBB4_1071
.LBB4_1070:                             ;   in Loop: Header=BB4_1068 Depth=3
	s_trap 2
	ds_load_b64 v[96:97], v0
	s_and_not1_b32 s73, s73, exec_lo
	s_mov_b32 s72, 0
	s_wait_loadcnt_dscnt 0x0
	flat_load_b32 v2, v[96:97] scope:SCOPE_SYS
	s_wait_loadcnt_dscnt 0x0
	global_inv scope:SCOPE_SYS
	v_cmp_eq_u32_e32 vcc_lo, 0, v2
	s_and_b32 s74, vcc_lo, exec_lo
	s_delay_alu instid0(SALU_CYCLE_1)
	s_or_b32 s73, s73, s74
	s_mov_b32 s75, -1
	s_or_b32 s63, s63, exec_lo
	s_and_saveexec_b32 s74, s73
	s_cbranch_execz .LBB4_1067
.LBB4_1071:                             ;   in Loop: Header=BB4_1068 Depth=3
	s_sleep 1
	s_trap 2
	ds_load_b64 v[96:97], v0
	s_wait_dscnt 0x0
	s_and_not1_b32 s63, s63, exec_lo
	v_cmp_ge_u64_e32 vcc_lo, v[96:97], v[12:13]
	s_or_not1_b32 s75, vcc_lo, exec_lo
	s_branch .LBB4_1067
.LBB4_1072:                             ;   in Loop: Header=BB4_1017 Depth=2
	s_or_b32 exec_lo, exec_lo, s61
	s_and_saveexec_b32 s61, s62
	s_delay_alu instid0(SALU_CYCLE_1)
	s_xor_b32 s61, exec_lo, s61
	s_cbranch_execz .LBB4_1074
; %bb.1073:                             ;   in Loop: Header=BB4_1017 Depth=2
	ds_store_b32 v0, v57
	s_trap 2
.LBB4_1074:                             ;   in Loop: Header=BB4_1017 Depth=2
	s_or_b32 exec_lo, exec_lo, s60
	;;#ASMSTART
	s_wakeup
	;;#ASMEND
.LBB4_1075:                             ;   in Loop: Header=BB4_1017 Depth=2
	s_or_b32 exec_lo, exec_lo, s41
.LBB4_1076:                             ;   in Loop: Header=BB4_1017 Depth=2
	s_and_not1_saveexec_b32 s40, s40
	s_cbranch_execz .LBB4_1078
; %bb.1077:                             ;   in Loop: Header=BB4_1017 Depth=2
	global_wb scope:SCOPE_DEV
	s_wait_storecnt 0x0
	s_wait_loadcnt_dscnt 0x0
	global_inv scope:SCOPE_DEV
	s_barrier_signal -1
	s_barrier_wait -1
.LBB4_1078:                             ;   in Loop: Header=BB4_1017 Depth=2
	s_or_b32 exec_lo, exec_lo, s40
.LBB4_1079:                             ;   in Loop: Header=BB4_1017 Depth=2
	s_delay_alu instid0(SALU_CYCLE_1) | instskip(SKIP_3) | instid1(VALU_DEP_1)
	s_or_b32 exec_lo, exec_lo, s13
	s_trap 2
	ds_load_b64 v[96:97], v0
	v_sub_nc_u32_e32 v2, v114, v8
	v_min_i32_e32 v115, v115, v2
	s_wait_dscnt 0x0
	v_cmp_eq_u64_e32 vcc_lo, 0, v[96:97]
	s_cbranch_vccnz .LBB4_1087
; %bb.1080:                             ;   in Loop: Header=BB4_1017 Depth=2
	s_trap 2
	ds_load_b64 v[98:99], v0
	s_wait_dscnt 0x0
	v_cmp_eq_u64_e32 vcc_lo, 0, v[98:99]
	s_cbranch_vccnz .LBB4_1087
; %bb.1081:                             ;   in Loop: Header=BB4_1017 Depth=2
	s_mov_b32 s13, -1
	s_and_saveexec_b32 s40, s11
	s_cbranch_execz .LBB4_1083
; %bb.1082:                             ;   in Loop: Header=BB4_1017 Depth=2
	ds_load_b32 v2, v0 offset:720
	s_wait_dscnt 0x0
	v_and_b32_e32 v2, 15, v2
	s_delay_alu instid0(VALU_DEP_1)
	v_cmp_eq_u32_e32 vcc_lo, 0, v2
	s_or_not1_b32 s13, vcc_lo, exec_lo
.LBB4_1083:                             ;   in Loop: Header=BB4_1017 Depth=2
	s_or_b32 exec_lo, exec_lo, s40
	s_and_saveexec_b32 s40, s7
	s_cbranch_execz .LBB4_1085
; %bb.1084:                             ;   in Loop: Header=BB4_1017 Depth=2
	ds_load_b32 v2, v0 offset:784
	s_wait_dscnt 0x0
	v_and_b32_e32 v2, 15, v2
	s_delay_alu instid0(VALU_DEP_1) | instskip(SKIP_3) | instid1(SALU_CYCLE_1)
	v_cmp_eq_u32_e32 vcc_lo, 0, v2
	s_and_b32 s41, s13, vcc_lo
	s_and_not1_b32 s13, s13, exec_lo
	s_and_b32 s41, s41, exec_lo
	s_or_b32 s13, s13, s41
.LBB4_1085:                             ;   in Loop: Header=BB4_1017 Depth=2
	s_or_b32 exec_lo, exec_lo, s40
	v_cmp_eq_u32_e32 vcc_lo, 0, v9
	s_xor_b32 s13, s13, -1
	s_mov_b32 s41, -1
	v_cndmask_b32_e64 v100, 0, 1, s13
	v_dual_mov_b32 v116, 0 :: v_dual_cndmask_b32 v2, 0, v115, vcc_lo
	s_delay_alu instid0(VALU_DEP_2) | instskip(NEXT) | instid1(VALU_DEP_2)
	v_cmp_ne_u32_e32 vcc_lo, 0, v100
	v_lshlrev_b32_e32 v9, 2, v2
	s_cbranch_vccz .LBB4_1092
; %bb.1086:                             ;   in Loop: Header=BB4_1017 Depth=2
	v_dual_mov_b32 v117, v0 :: v_dual_mov_b32 v100, v60
	s_and_saveexec_b32 s13, s41
	s_cbranch_execnz .LBB4_1105
	s_branch .LBB4_1113
.LBB4_1087:                             ;   in Loop: Header=BB4_1017 Depth=2
	s_mov_b32 s13, 0
	s_and_saveexec_b32 s40, s2
	s_cbranch_execnz .LBB4_1114
.LBB4_1088:                             ;   in Loop: Header=BB4_1017 Depth=2
	s_or_b32 exec_lo, exec_lo, s40
	s_and_saveexec_b32 s40, s10
	s_delay_alu instid0(SALU_CYCLE_1)
	s_xor_b32 s40, exec_lo, s40
	s_cbranch_execz .LBB4_1132
.LBB4_1089:                             ;   in Loop: Header=BB4_1017 Depth=2
	v_and_b32_e32 v2, 16, v30
	s_delay_alu instid0(VALU_DEP_1) | instskip(SKIP_1) | instid1(SALU_CYCLE_1)
	v_cmp_ne_u32_e32 vcc_lo, 0, v2
	s_and_b32 s41, vcc_lo, s13
	s_and_saveexec_b32 s13, s41
	s_cbranch_execz .LBB4_1091
; %bb.1090:                             ;   in Loop: Header=BB4_1017 Depth=2
	global_wb scope:SCOPE_SYS
	s_wait_storecnt 0x0
	s_wait_loadcnt_dscnt 0x0
	global_inv scope:SCOPE_SYS
.LBB4_1091:                             ;   in Loop: Header=BB4_1017 Depth=2
	s_or_b32 exec_lo, exec_lo, s13
	s_and_not1_saveexec_b32 s13, s40
	s_cbranch_execz .LBB4_1151
	s_branch .LBB4_1133
.LBB4_1092:                             ;   in Loop: Header=BB4_1017 Depth=2
	s_delay_alu instid0(VALU_DEP_1) | instskip(SKIP_1) | instid1(VALU_DEP_1)
	v_ashrrev_i32_e32 v100, 31, v9
	s_mov_b32 s13, exec_lo
	v_lshrrev_b32_e32 v100, 21, v100
	s_delay_alu instid0(VALU_DEP_1) | instskip(NEXT) | instid1(VALU_DEP_1)
	v_add_nc_u32_e32 v100, v9, v100
	v_ashrrev_i32_e32 v113, 11, v100
	s_delay_alu instid0(VALU_DEP_1) | instskip(NEXT) | instid1(VALU_DEP_1)
	v_sub_nc_u32_e32 v112, v113, v60
	v_cmpx_lt_i32_e32 0, v112
	s_cbranch_execz .LBB4_1096
; %bb.1093:                             ;   in Loop: Header=BB4_1017 Depth=2
	v_mov_b64_e32 v[100:101], v[98:99]
	v_mov_b64_e32 v[102:103], v[96:97]
	s_mov_b32 s40, 0
.LBB4_1094:                             ;   Parent Loop BB4_47 Depth=1
                                        ;     Parent Loop BB4_1017 Depth=2
                                        ; =>    This Inner Loop Header: Depth=3
	s_delay_alu instid0(VALU_DEP_1)
	v_add_nc_u64_e32 v[62:63], v[70:71], v[102:103]
	v_sub_nc_u32_e32 v112, v112, v32
	v_add_nc_u64_e32 v[102:103], v[102:103], v[48:49]
	s_clause 0x3
	global_load_b128 v[116:119], v[62:63], off th:TH_LOAD_NT
	global_load_b128 v[40:43], v[62:63], off offset:512 th:TH_LOAD_NT
	global_load_b128 v[44:47], v[62:63], off offset:1024 th:TH_LOAD_NT
	;; [unrolled: 1-line block ×3, first 2 shown]
	s_wait_xcnt 0x0
	v_add_nc_u64_e32 v[62:63], v[70:71], v[100:101]
	v_cmp_gt_i32_e32 vcc_lo, 1, v112
	v_add_nc_u64_e32 v[100:101], v[100:101], v[48:49]
	s_wait_loadcnt 0x3
	global_store_b128 v[62:63], v[116:119], off th:TH_STORE_NT
	s_wait_loadcnt 0x2
	global_store_b128 v[62:63], v[40:43], off offset:512 th:TH_STORE_NT
	s_wait_loadcnt 0x1
	global_store_b128 v[62:63], v[44:47], off offset:1024 th:TH_STORE_NT
	;; [unrolled: 2-line block ×3, first 2 shown]
	s_or_b32 s40, vcc_lo, s40
	s_wait_xcnt 0x0
	s_and_not1_b32 exec_lo, exec_lo, s40
	s_cbranch_execnz .LBB4_1094
; %bb.1095:                             ;   in Loop: Header=BB4_1017 Depth=2
	s_or_b32 exec_lo, exec_lo, s40
.LBB4_1096:                             ;   in Loop: Header=BB4_1017 Depth=2
	s_delay_alu instid0(SALU_CYCLE_1) | instskip(SKIP_3) | instid1(VALU_DEP_1)
	s_or_b32 exec_lo, exec_lo, s13
	v_dual_lshlrev_b32 v102, 11, v113 :: v_dual_mov_b32 v116, 0
	s_mov_b32 s41, 0
	s_mov_b32 s40, exec_lo
                                        ; implicit-def: $vgpr117
                                        ; implicit-def: $vgpr100
	v_cmpx_ne_u32_e64 v9, v102
	s_cbranch_execz .LBB4_1104
; %bb.1097:                             ;   in Loop: Header=BB4_1017 Depth=2
	v_dual_lshlrev_b32 v100, 5, v112 :: v_dual_sub_nc_u32 v116, v9, v102
	s_mov_b32 s41, exec_lo
	s_delay_alu instid0(VALU_DEP_1) | instskip(NEXT) | instid1(VALU_DEP_2)
	v_sub_nc_u32_e32 v100, v61, v100
	v_ashrrev_i32_e32 v103, 31, v116
	s_delay_alu instid0(VALU_DEP_1) | instskip(NEXT) | instid1(VALU_DEP_1)
	v_dual_ashrrev_i32 v101, 31, v100 :: v_dual_lshrrev_b32 v103, 23, v103
	v_lshrrev_b32_e32 v101, 27, v101
	s_delay_alu instid0(VALU_DEP_1) | instskip(NEXT) | instid1(VALU_DEP_3)
	v_add_nc_u32_e32 v101, v100, v101
	v_add_nc_u32_e32 v117, v116, v103
	s_delay_alu instid0(VALU_DEP_2) | instskip(SKIP_1) | instid1(VALU_DEP_3)
	v_and_b32_e32 v112, 0xffffffe0, v101
	v_ashrrev_i32_e32 v101, 5, v101
	v_and_b32_e32 v103, 0xfffffe00, v117
	s_delay_alu instid0(VALU_DEP_3) | instskip(NEXT) | instid1(VALU_DEP_1)
	v_dual_ashrrev_i32 v117, 9, v117 :: v_dual_sub_nc_u32 v112, v100, v112
	v_dual_sub_nc_u32 v113, v116, v103 :: v_dual_lshlrev_b32 v100, 4, v112
	s_delay_alu instid0(VALU_DEP_1) | instskip(NEXT) | instid1(VALU_DEP_2)
	v_cmp_lt_i32_e32 vcc_lo, 15, v113
	v_lshl_add_u32 v100, v101, 9, v100
	s_delay_alu instid0(VALU_DEP_4) | instskip(NEXT) | instid1(VALU_DEP_1)
	v_add_co_ci_u32_e64 v117, null, 0, v117, vcc_lo
	v_dual_sub_nc_u32 v116, v116, v100 :: v_dual_sub_nc_u32 v118, v117, v101
	s_delay_alu instid0(VALU_DEP_1)
	v_cmpx_lt_i32_e32 15, v116
	s_cbranch_execz .LBB4_1101
; %bb.1098:                             ;   in Loop: Header=BB4_1017 Depth=2
	v_add_nc_u32_e32 v100, v100, v102
	s_mov_b32 s60, 0
	s_delay_alu instid0(VALU_DEP_1)
	v_ashrrev_i32_e32 v101, 31, v100
.LBB4_1099:                             ;   Parent Loop BB4_47 Depth=1
                                        ;     Parent Loop BB4_1017 Depth=2
                                        ; =>    This Inner Loop Header: Depth=3
	s_delay_alu instid0(VALU_DEP_1) | instskip(SKIP_3) | instid1(VALU_DEP_3)
	v_add_nc_u64_e32 v[40:41], v[96:97], v[100:101]
	v_dual_sub_nc_u32 v116, v116, v50 :: v_dual_sub_nc_u32 v118, v118, v32
	v_add_nc_u64_e32 v[44:45], v[98:99], v[100:101]
	v_add_nc_u64_e32 v[100:101], v[100:101], v[50:51]
	v_cmp_gt_i32_e64 s13, 16, v116
	global_load_b128 v[40:43], v[40:41], off th:TH_LOAD_NT
	s_or_b32 s60, s13, s60
	s_wait_loadcnt 0x0
	global_store_b128 v[44:45], v[40:43], off th:TH_STORE_NT
	s_wait_xcnt 0x0
	s_and_not1_b32 exec_lo, exec_lo, s60
	s_cbranch_execnz .LBB4_1099
; %bb.1100:                             ;   in Loop: Header=BB4_1017 Depth=2
	s_or_b32 exec_lo, exec_lo, s60
.LBB4_1101:                             ;   in Loop: Header=BB4_1017 Depth=2
	s_delay_alu instid0(SALU_CYCLE_1) | instskip(SKIP_3) | instid1(VALU_DEP_1)
	s_or_b32 exec_lo, exec_lo, s41
	v_dual_mov_b32 v116, 0 :: v_dual_bitop2_b32 v101, 12, v9 bitop3:0x40
	s_mov_b32 s41, 0
	s_mov_b32 s60, exec_lo
                                        ; implicit-def: $vgpr117
                                        ; implicit-def: $vgpr100
	v_cndmask_b32_e32 v9, v113, v101, vcc_lo
	s_delay_alu instid0(VALU_DEP_1)
	v_cmpx_ne_u32_e32 0, v9
	s_cbranch_execz .LBB4_1103
; %bb.1102:                             ;   in Loop: Header=BB4_1017 Depth=2
	v_cmp_lt_i32_e64 s13, 0, v118
	s_mov_b32 s41, exec_lo
	v_dual_sub_nc_u32 v101, v113, v101 :: v_dual_cndmask_b32 v100, 0, v32, s13
	s_delay_alu instid0(VALU_DEP_1) | instskip(NEXT) | instid1(VALU_DEP_1)
	v_dual_cndmask_b32 v101, 0, v101 :: v_dual_sub_nc_u32 v100, v100, v118
	v_add3_u32 v116, v103, v102, v101
	s_delay_alu instid0(VALU_DEP_2) | instskip(NEXT) | instid1(VALU_DEP_1)
	v_lshl_add_u32 v117, v100, 5, v112
	v_ashrrev_i32_e32 v100, 31, v117
	s_delay_alu instid0(VALU_DEP_1) | instskip(NEXT) | instid1(VALU_DEP_1)
	v_lshrrev_b32_e32 v100, 27, v100
	v_add_nc_u32_e32 v100, v117, v100
	s_delay_alu instid0(VALU_DEP_1)
	v_ashrrev_i32_e32 v100, 5, v100
.LBB4_1103:                             ;   in Loop: Header=BB4_1017 Depth=2
	s_or_b32 exec_lo, exec_lo, s60
	s_delay_alu instid0(SALU_CYCLE_1)
	s_and_b32 s41, s41, exec_lo
.LBB4_1104:                             ;   in Loop: Header=BB4_1017 Depth=2
	s_or_b32 exec_lo, exec_lo, s40
	s_and_saveexec_b32 s13, s41
	s_cbranch_execz .LBB4_1113
.LBB4_1105:                             ;   in Loop: Header=BB4_1017 Depth=2
	v_ashrrev_i32_e32 v101, 31, v9
	s_mov_b32 s40, exec_lo
	s_delay_alu instid0(VALU_DEP_1) | instskip(NEXT) | instid1(VALU_DEP_1)
	v_lshrrev_b32_e32 v101, 23, v101
	v_add_nc_u32_e32 v101, v9, v101
	s_delay_alu instid0(VALU_DEP_1) | instskip(SKIP_1) | instid1(VALU_DEP_1)
	v_ashrrev_i32_e32 v40, 9, v101
	v_ashrrev_i32_e32 v101, 31, v117
	v_dual_lshrrev_b32 v119, 27, v101 :: v_dual_sub_nc_u32 v118, v40, v100
	s_delay_alu instid0(VALU_DEP_1)
	v_cmpx_lt_i32_e32 0, v118
	s_cbranch_execz .LBB4_1109
; %bb.1106:                             ;   in Loop: Header=BB4_1017 Depth=2
	s_delay_alu instid0(VALU_DEP_2) | instskip(SKIP_3) | instid1(VALU_DEP_3)
	v_dual_add_nc_u32 v101, v117, v119 :: v_dual_lshlrev_b32 v100, 9, v100
	v_mov_b64_e32 v[102:103], v[98:99]
	v_mov_b64_e32 v[112:113], v[96:97]
	s_mov_b32 s41, 0
	v_and_b32_e32 v101, 0x3fffffe0, v101
	s_delay_alu instid0(VALU_DEP_1) | instskip(NEXT) | instid1(VALU_DEP_1)
	v_sub_nc_u32_e32 v101, v117, v101
	v_lshlrev_b32_e32 v101, 2, v101
	s_delay_alu instid0(VALU_DEP_1) | instskip(NEXT) | instid1(VALU_DEP_1)
	v_add3_u32 v100, v101, v116, v100
	v_ashrrev_i32_e32 v101, 31, v100
.LBB4_1107:                             ;   Parent Loop BB4_47 Depth=1
                                        ;     Parent Loop BB4_1017 Depth=2
                                        ; =>    This Inner Loop Header: Depth=3
	s_delay_alu instid0(VALU_DEP_1)
	v_add_nc_u64_e32 v[42:43], v[100:101], v[112:113]
	v_sub_nc_u32_e32 v118, v118, v32
	v_add_nc_u64_e32 v[112:113], v[112:113], v[50:51]
	s_clause 0x3
	flat_load_b32 v41, v[42:43] th:TH_LOAD_NT
	flat_load_b32 v44, v[42:43] offset:128 th:TH_LOAD_NT
	flat_load_b32 v45, v[42:43] offset:256 th:TH_LOAD_NT
	;; [unrolled: 1-line block ×3, first 2 shown]
	s_wait_xcnt 0x0
	v_add_nc_u64_e32 v[42:43], v[100:101], v[102:103]
	v_cmp_gt_i32_e32 vcc_lo, 1, v118
	v_add_nc_u64_e32 v[102:103], v[102:103], v[50:51]
	s_wait_loadcnt_dscnt 0x303
	flat_store_b32 v[42:43], v41 th:TH_STORE_NT
	s_wait_loadcnt_dscnt 0x203
	flat_store_b32 v[42:43], v44 offset:128 th:TH_STORE_NT
	s_wait_loadcnt_dscnt 0x103
	flat_store_b32 v[42:43], v45 offset:256 th:TH_STORE_NT
	;; [unrolled: 2-line block ×3, first 2 shown]
	s_or_b32 s41, vcc_lo, s41
	s_wait_xcnt 0x0
	s_and_not1_b32 exec_lo, exec_lo, s41
	s_cbranch_execnz .LBB4_1107
; %bb.1108:                             ;   in Loop: Header=BB4_1017 Depth=2
	s_or_b32 exec_lo, exec_lo, s41
.LBB4_1109:                             ;   in Loop: Header=BB4_1017 Depth=2
	s_delay_alu instid0(SALU_CYCLE_1) | instskip(SKIP_1) | instid1(VALU_DEP_1)
	s_or_b32 exec_lo, exec_lo, s40
	v_lshlrev_b32_e32 v100, 9, v40
	v_cmp_ne_u32_e32 vcc_lo, v9, v100
	s_and_b32 exec_lo, exec_lo, vcc_lo
	s_cbranch_execz .LBB4_1113
; %bb.1110:                             ;   in Loop: Header=BB4_1017 Depth=2
	v_dual_add_nc_u32 v101, v117, v119 :: v_dual_lshlrev_b32 v102, 5, v118
	s_delay_alu instid0(VALU_DEP_1) | instskip(NEXT) | instid1(VALU_DEP_1)
	v_and_b32_e32 v101, 0xffffffe0, v101
	v_sub_nc_u32_e32 v101, v117, v101
	s_delay_alu instid0(VALU_DEP_1) | instskip(NEXT) | instid1(VALU_DEP_1)
	v_sub_nc_u32_e32 v101, v101, v102
	v_ashrrev_i32_e32 v102, 31, v101
	s_delay_alu instid0(VALU_DEP_1) | instskip(NEXT) | instid1(VALU_DEP_1)
	v_lshrrev_b32_e32 v102, 27, v102
	v_add_nc_u32_e32 v102, v101, v102
	s_delay_alu instid0(VALU_DEP_1) | instskip(NEXT) | instid1(VALU_DEP_1)
	v_and_b32_e32 v103, 0x3fffffe0, v102
	v_dual_lshlrev_b32 v102, 2, v102 :: v_dual_sub_nc_u32 v101, v101, v103
	s_delay_alu instid0(VALU_DEP_1) | instskip(NEXT) | instid1(VALU_DEP_2)
	v_and_b32_e32 v102, 0xffffff80, v102
	v_lshlrev_b32_e32 v101, 2, v101
	s_delay_alu instid0(VALU_DEP_1) | instskip(NEXT) | instid1(VALU_DEP_1)
	v_add3_u32 v100, v102, v101, v100
	v_sub_nc_u32_e32 v9, v9, v100
	s_delay_alu instid0(VALU_DEP_1)
	v_cmp_lt_i32_e32 vcc_lo, 3, v9
	s_and_b32 exec_lo, exec_lo, vcc_lo
	s_cbranch_execz .LBB4_1113
; %bb.1111:                             ;   in Loop: Header=BB4_1017 Depth=2
	v_add_nc_u32_e32 v100, v100, v116
	s_mov_b32 s40, 0
	s_delay_alu instid0(VALU_DEP_1)
	v_ashrrev_i32_e32 v101, 31, v100
.LBB4_1112:                             ;   Parent Loop BB4_47 Depth=1
                                        ;     Parent Loop BB4_1017 Depth=2
                                        ; =>    This Inner Loop Header: Depth=3
	s_delay_alu instid0(VALU_DEP_1) | instskip(SKIP_1) | instid1(VALU_DEP_1)
	v_add_nc_u64_e32 v[102:103], v[96:97], v[100:101]
	v_sub_nc_u32_e32 v9, v9, v52
	v_cmp_gt_i32_e32 vcc_lo, 4, v9
	flat_load_b32 v112, v[102:103] th:TH_LOAD_NT
	s_wait_xcnt 0x0
	v_add_nc_u64_e32 v[102:103], v[98:99], v[100:101]
	v_add_nc_u64_e32 v[100:101], v[100:101], v[52:53]
	s_or_b32 s40, vcc_lo, s40
	s_wait_loadcnt_dscnt 0x0
	flat_store_b32 v[102:103], v112 th:TH_STORE_NT
	s_wait_xcnt 0x0
	s_and_not1_b32 exec_lo, exec_lo, s40
	s_cbranch_execnz .LBB4_1112
.LBB4_1113:                             ;   in Loop: Header=BB4_1017 Depth=2
	s_or_b32 exec_lo, exec_lo, s13
	v_cmp_lt_i32_e64 s13, 0, v2
	s_and_saveexec_b32 s40, s2
	s_cbranch_execz .LBB4_1088
.LBB4_1114:                             ;   in Loop: Header=BB4_1017 Depth=2
	s_and_saveexec_b32 s41, s3
	s_delay_alu instid0(SALU_CYCLE_1)
	s_xor_b32 s41, exec_lo, s41
	s_cbranch_execz .LBB4_1129
; %bb.1115:                             ;   in Loop: Header=BB4_1017 Depth=2
	s_and_saveexec_b32 s60, s6
	s_cbranch_execz .LBB4_1128
; %bb.1116:                             ;   in Loop: Header=BB4_1017 Depth=2
	s_mov_b32 s62, exec_lo
	s_mov_b32 s61, exec_lo
	v_mbcnt_lo_u32_b32 v2, s62, 0
	global_wb scope:SCOPE_DEV
	s_wait_storecnt 0x0
	s_wait_loadcnt_dscnt 0x0
	global_inv scope:SCOPE_DEV
	v_cmpx_eq_u32_e32 0, v2
	s_cbranch_execz .LBB4_1118
; %bb.1117:                             ;   in Loop: Header=BB4_1017 Depth=2
	s_bcnt1_i32_b32 s62, s62
	s_delay_alu instid0(SALU_CYCLE_1)
	v_mov_b32_e32 v2, s62
	s_wait_loadcnt 0x0
	ds_add_u64 v0, v[2:3]
	s_trap 2
.LBB4_1118:                             ;   in Loop: Header=BB4_1017 Depth=2
	s_or_b32 exec_lo, exec_lo, s61
	s_trap 2
	ds_load_b64 v[96:97], v0
	s_wait_dscnt 0x0
	v_add_nc_u64_e32 v[12:13], v[12:13], v[32:33]
	s_mov_b32 s61, exec_lo
	s_delay_alu instid0(VALU_DEP_1)
	v_cmpx_lt_u64_e64 v[96:97], v[12:13]
	s_cbranch_execz .LBB4_1127
; %bb.1119:                             ;   in Loop: Header=BB4_1017 Depth=2
	s_mov_b32 s62, 0
	s_mov_b32 s73, 0
                                        ; implicit-def: $sgpr63
                                        ; implicit-def: $sgpr72
	s_branch .LBB4_1121
.LBB4_1120:                             ;   in Loop: Header=BB4_1121 Depth=3
	s_or_b32 exec_lo, exec_lo, s75
	s_delay_alu instid0(SALU_CYCLE_1) | instskip(NEXT) | instid1(SALU_CYCLE_1)
	s_and_b32 s74, exec_lo, s76
	s_or_b32 s62, s74, s62
	s_and_not1_b32 s63, s63, exec_lo
	s_and_b32 s74, s72, exec_lo
	s_delay_alu instid0(SALU_CYCLE_1)
	s_or_b32 s63, s63, s74
	s_and_not1_b32 exec_lo, exec_lo, s62
	s_cbranch_execz .LBB4_1125
.LBB4_1121:                             ;   Parent Loop BB4_47 Depth=1
                                        ;     Parent Loop BB4_1017 Depth=2
                                        ; =>    This Inner Loop Header: Depth=3
	s_add_co_i32 s73, s73, 1
	s_delay_alu instid0(SALU_CYCLE_1) | instskip(SKIP_1) | instid1(SALU_CYCLE_1)
	s_cmp_lg_u32 s73, 0x2710
	s_cselect_b32 s74, -1, 0
	s_and_b32 vcc_lo, exec_lo, s74
	s_cbranch_vccz .LBB4_1123
; %bb.1122:                             ;   in Loop: Header=BB4_1121 Depth=3
	s_mov_b32 s76, -1
	s_or_b32 s72, s72, exec_lo
	s_and_saveexec_b32 s75, s74
	s_cbranch_execz .LBB4_1120
	s_branch .LBB4_1124
.LBB4_1123:                             ;   in Loop: Header=BB4_1121 Depth=3
	s_trap 2
	ds_load_b64 v[96:97], v0
	s_and_not1_b32 s74, s74, exec_lo
	s_mov_b32 s73, 0
	s_wait_loadcnt_dscnt 0x0
	flat_load_b32 v2, v[96:97] scope:SCOPE_SYS
	s_wait_loadcnt_dscnt 0x0
	global_inv scope:SCOPE_SYS
	v_cmp_eq_u32_e32 vcc_lo, 0, v2
	s_and_b32 s75, vcc_lo, exec_lo
	s_delay_alu instid0(SALU_CYCLE_1)
	s_or_b32 s74, s74, s75
	s_mov_b32 s76, -1
	s_or_b32 s72, s72, exec_lo
	s_and_saveexec_b32 s75, s74
	s_cbranch_execz .LBB4_1120
.LBB4_1124:                             ;   in Loop: Header=BB4_1121 Depth=3
	s_sleep 1
	s_trap 2
	ds_load_b64 v[96:97], v0
	s_wait_dscnt 0x0
	s_and_not1_b32 s72, s72, exec_lo
	v_cmp_ge_u64_e32 vcc_lo, v[96:97], v[12:13]
	s_or_not1_b32 s76, vcc_lo, exec_lo
	s_branch .LBB4_1120
.LBB4_1125:                             ;   in Loop: Header=BB4_1017 Depth=2
	s_or_b32 exec_lo, exec_lo, s62
	s_and_saveexec_b32 s62, s63
	s_delay_alu instid0(SALU_CYCLE_1)
	s_xor_b32 s62, exec_lo, s62
	s_cbranch_execz .LBB4_1127
; %bb.1126:                             ;   in Loop: Header=BB4_1017 Depth=2
	ds_store_b32 v0, v57
	s_trap 2
.LBB4_1127:                             ;   in Loop: Header=BB4_1017 Depth=2
	s_or_b32 exec_lo, exec_lo, s61
	;;#ASMSTART
	s_wakeup
	;;#ASMEND
.LBB4_1128:                             ;   in Loop: Header=BB4_1017 Depth=2
	s_or_b32 exec_lo, exec_lo, s60
.LBB4_1129:                             ;   in Loop: Header=BB4_1017 Depth=2
	s_and_not1_saveexec_b32 s41, s41
	s_cbranch_execz .LBB4_1131
; %bb.1130:                             ;   in Loop: Header=BB4_1017 Depth=2
	global_wb scope:SCOPE_DEV
	s_wait_storecnt 0x0
	s_wait_loadcnt_dscnt 0x0
	global_inv scope:SCOPE_DEV
	s_barrier_signal -1
	s_barrier_wait -1
.LBB4_1131:                             ;   in Loop: Header=BB4_1017 Depth=2
	s_or_b32 exec_lo, exec_lo, s41
	s_delay_alu instid0(SALU_CYCLE_1) | instskip(SKIP_1) | instid1(SALU_CYCLE_1)
	s_or_b32 exec_lo, exec_lo, s40
	s_and_saveexec_b32 s40, s10
	s_xor_b32 s40, exec_lo, s40
	s_cbranch_execnz .LBB4_1089
.LBB4_1132:                             ;   in Loop: Header=BB4_1017 Depth=2
	s_and_not1_saveexec_b32 s13, s40
	s_cbranch_execz .LBB4_1151
.LBB4_1133:                             ;   in Loop: Header=BB4_1017 Depth=2
	s_and_saveexec_b32 s40, s3
	s_delay_alu instid0(SALU_CYCLE_1)
	s_xor_b32 s40, exec_lo, s40
	s_cbranch_execz .LBB4_1148
; %bb.1134:                             ;   in Loop: Header=BB4_1017 Depth=2
	s_and_saveexec_b32 s41, s6
	s_cbranch_execz .LBB4_1147
; %bb.1135:                             ;   in Loop: Header=BB4_1017 Depth=2
	s_mov_b32 s61, exec_lo
	s_mov_b32 s60, exec_lo
	v_mbcnt_lo_u32_b32 v2, s61, 0
	;;#ASMSTART
	s_waitcnt lgkmcnt(0) vmcnt(0)
	;;#ASMEND
	s_delay_alu instid0(VALU_DEP_1)
	v_cmpx_eq_u32_e32 0, v2
	s_cbranch_execz .LBB4_1137
; %bb.1136:                             ;   in Loop: Header=BB4_1017 Depth=2
	s_bcnt1_i32_b32 s61, s61
	s_delay_alu instid0(SALU_CYCLE_1)
	v_mov_b32_e32 v2, s61
	s_wait_storecnt 0x0
	s_wait_loadcnt_dscnt 0x0
	ds_add_u64 v0, v[2:3]
	s_trap 2
.LBB4_1137:                             ;   in Loop: Header=BB4_1017 Depth=2
	s_or_b32 exec_lo, exec_lo, s60
	s_trap 2
	ds_load_b64 v[96:97], v0
	s_wait_dscnt 0x0
	v_add_nc_u64_e32 v[12:13], v[12:13], v[32:33]
	s_mov_b32 s60, exec_lo
	s_delay_alu instid0(VALU_DEP_1)
	v_cmpx_lt_u64_e64 v[96:97], v[12:13]
	s_cbranch_execz .LBB4_1146
; %bb.1138:                             ;   in Loop: Header=BB4_1017 Depth=2
	s_mov_b32 s61, 0
	s_mov_b32 s72, 0
                                        ; implicit-def: $sgpr62
                                        ; implicit-def: $sgpr63
	s_branch .LBB4_1140
.LBB4_1139:                             ;   in Loop: Header=BB4_1140 Depth=3
	s_or_b32 exec_lo, exec_lo, s74
	s_delay_alu instid0(SALU_CYCLE_1) | instskip(NEXT) | instid1(SALU_CYCLE_1)
	s_and_b32 s73, exec_lo, s75
	s_or_b32 s61, s73, s61
	s_and_not1_b32 s62, s62, exec_lo
	s_and_b32 s73, s63, exec_lo
	s_delay_alu instid0(SALU_CYCLE_1)
	s_or_b32 s62, s62, s73
	s_and_not1_b32 exec_lo, exec_lo, s61
	s_cbranch_execz .LBB4_1144
.LBB4_1140:                             ;   Parent Loop BB4_47 Depth=1
                                        ;     Parent Loop BB4_1017 Depth=2
                                        ; =>    This Inner Loop Header: Depth=3
	s_add_co_i32 s72, s72, 1
	s_delay_alu instid0(SALU_CYCLE_1) | instskip(SKIP_1) | instid1(SALU_CYCLE_1)
	s_cmp_lg_u32 s72, 0x2710
	s_cselect_b32 s73, -1, 0
	s_and_b32 vcc_lo, exec_lo, s73
	s_cbranch_vccz .LBB4_1142
; %bb.1141:                             ;   in Loop: Header=BB4_1140 Depth=3
	s_mov_b32 s75, -1
	s_or_b32 s63, s63, exec_lo
	s_and_saveexec_b32 s74, s73
	s_cbranch_execz .LBB4_1139
	s_branch .LBB4_1143
.LBB4_1142:                             ;   in Loop: Header=BB4_1140 Depth=3
	s_trap 2
	ds_load_b64 v[96:97], v0
	s_and_not1_b32 s73, s73, exec_lo
	s_mov_b32 s72, 0
	s_wait_storecnt 0x0
	s_wait_loadcnt_dscnt 0x0
	flat_load_b32 v2, v[96:97] scope:SCOPE_SYS
	s_wait_loadcnt_dscnt 0x0
	global_inv scope:SCOPE_SYS
	v_cmp_eq_u32_e32 vcc_lo, 0, v2
	s_and_b32 s74, vcc_lo, exec_lo
	s_delay_alu instid0(SALU_CYCLE_1)
	s_or_b32 s73, s73, s74
	s_mov_b32 s75, -1
	s_or_b32 s63, s63, exec_lo
	s_and_saveexec_b32 s74, s73
	s_cbranch_execz .LBB4_1139
.LBB4_1143:                             ;   in Loop: Header=BB4_1140 Depth=3
	s_sleep 1
	s_trap 2
	ds_load_b64 v[96:97], v0
	s_wait_dscnt 0x0
	s_and_not1_b32 s63, s63, exec_lo
	v_cmp_ge_u64_e32 vcc_lo, v[96:97], v[12:13]
	s_or_not1_b32 s75, vcc_lo, exec_lo
	s_branch .LBB4_1139
.LBB4_1144:                             ;   in Loop: Header=BB4_1017 Depth=2
	s_or_b32 exec_lo, exec_lo, s61
	s_and_saveexec_b32 s61, s62
	s_delay_alu instid0(SALU_CYCLE_1)
	s_xor_b32 s61, exec_lo, s61
	s_cbranch_execz .LBB4_1146
; %bb.1145:                             ;   in Loop: Header=BB4_1017 Depth=2
	ds_store_b32 v0, v57
	s_trap 2
.LBB4_1146:                             ;   in Loop: Header=BB4_1017 Depth=2
	s_or_b32 exec_lo, exec_lo, s60
	;;#ASMSTART
	s_wakeup
	;;#ASMEND
.LBB4_1147:                             ;   in Loop: Header=BB4_1017 Depth=2
	s_or_b32 exec_lo, exec_lo, s41
.LBB4_1148:                             ;   in Loop: Header=BB4_1017 Depth=2
	s_and_not1_saveexec_b32 s40, s40
	s_cbranch_execz .LBB4_1150
; %bb.1149:                             ;   in Loop: Header=BB4_1017 Depth=2
	;;#ASMSTART
	s_waitcnt lgkmcnt(0) vmcnt(0)
	;;#ASMEND
	s_barrier_signal -1
	s_barrier_wait -1
.LBB4_1150:                             ;   in Loop: Header=BB4_1017 Depth=2
	s_or_b32 exec_lo, exec_lo, s40
.LBB4_1151:                             ;   in Loop: Header=BB4_1017 Depth=2
	s_delay_alu instid0(SALU_CYCLE_1) | instskip(SKIP_2) | instid1(VALU_DEP_1)
	s_or_b32 exec_lo, exec_lo, s13
	v_and_b32_e32 v2, 32, v30
	s_mov_b32 s13, exec_lo
	v_cmpx_ne_u32_e32 0, v2
	s_cbranch_execz .LBB4_1016
; %bb.1152:                             ;   in Loop: Header=BB4_1017 Depth=2
	v_add_nc_u64_e32 v[86:87], 2, v[86:87]
	global_wb scope:SCOPE_SYS
	s_wait_storecnt 0x0
	s_wait_loadcnt_dscnt 0x0
	flat_store_b64 v[20:21], v[86:87] scope:SCOPE_SYS
	s_branch .LBB4_1016
.LBB4_1153:                             ;   in Loop: Header=BB4_47 Depth=1
	s_or_b32 exec_lo, exec_lo, s15
.LBB4_1154:                             ;   in Loop: Header=BB4_47 Depth=1
	s_delay_alu instid0(SALU_CYCLE_1) | instskip(NEXT) | instid1(SALU_CYCLE_1)
	s_or_b32 exec_lo, exec_lo, s14
	s_mov_b32 s14, exec_lo
	v_cmpx_gt_i32_e32 2, v2
	s_cbranch_execz .LBB4_46
; %bb.1155:                             ;   in Loop: Header=BB4_47 Depth=1
	v_cmp_eq_u32_e64 s18, 0, v2
	s_mov_b32 s15, 0
	s_branch .LBB4_1157
.LBB4_1156:                             ;   in Loop: Header=BB4_1157 Depth=2
	s_wait_xcnt 0x0
	s_or_b32 exec_lo, exec_lo, s13
	v_add_nc_u32_e32 v8, v115, v8
	s_mov_b32 s18, 0
	s_and_not1_b32 exec_lo, exec_lo, s15
	s_cbranch_execz .LBB4_45
.LBB4_1157:                             ;   Parent Loop BB4_47 Depth=1
                                        ; =>  This Loop Header: Depth=2
                                        ;       Child Loop BB4_1163 Depth 3
                                        ;       Child Loop BB4_1187 Depth 3
	;; [unrolled: 1-line block ×3, first 2 shown]
	v_and_b32_e32 v2, 4, v30
	s_mov_b32 s27, exec_lo
	s_delay_alu instid0(VALU_DEP_1)
	v_cmpx_ne_u32_e32 0, v2
	s_cbranch_execz .LBB4_1179
; %bb.1158:                             ;   in Loop: Header=BB4_1157 Depth=2
	v_add_nc_u64_e32 v[10:11], 2, v[86:87]
	s_mov_b32 s40, exec_lo
	s_wait_loadcnt_dscnt 0x1
	s_delay_alu instid0(VALU_DEP_1)
	v_cmpx_lt_u64_e64 v[28:29], v[10:11]
	s_cbranch_execz .LBB4_1170
; %bb.1159:                             ;   in Loop: Header=BB4_1157 Depth=2
	v_and_b32_e32 v2, 64, v30
	s_mov_b32 s41, 0
	s_mov_b32 s63, 0
                                        ; implicit-def: $sgpr60
                                        ; implicit-def: $sgpr61
                                        ; implicit-def: $sgpr62
	s_delay_alu instid0(VALU_DEP_1)
	v_cmp_eq_u32_e32 vcc_lo, 0, v2
	s_branch .LBB4_1163
.LBB4_1160:                             ;   in Loop: Header=BB4_1163 Depth=3
	s_wait_loadcnt_dscnt 0x0
	v_cmp_ge_u64_e64 s13, v[28:29], v[10:11]
	s_or_b32 s74, s74, exec_lo
	s_or_not1_b32 s73, s13, exec_lo
.LBB4_1161:                             ;   in Loop: Header=BB4_1163 Depth=3
	s_or_b32 exec_lo, exec_lo, s76
	s_delay_alu instid0(SALU_CYCLE_1)
	s_and_not1_b32 s13, s62, exec_lo
	s_and_b32 s62, s74, exec_lo
	s_and_not1_b32 s61, s61, exec_lo
	s_and_b32 s73, s73, exec_lo
	s_or_b32 s62, s13, s62
	s_or_b32 s61, s61, s73
.LBB4_1162:                             ;   in Loop: Header=BB4_1163 Depth=3
	s_or_b32 exec_lo, exec_lo, s72
	s_delay_alu instid0(SALU_CYCLE_1) | instskip(NEXT) | instid1(SALU_CYCLE_1)
	s_and_b32 s13, exec_lo, s61
	s_or_b32 s41, s13, s41
	s_and_not1_b32 s13, s60, exec_lo
	s_and_b32 s60, s62, exec_lo
	s_delay_alu instid0(SALU_CYCLE_1)
	s_or_b32 s60, s13, s60
	s_and_not1_b32 exec_lo, exec_lo, s41
	s_cbranch_execz .LBB4_1167
.LBB4_1163:                             ;   Parent Loop BB4_47 Depth=1
                                        ;     Parent Loop BB4_1157 Depth=2
                                        ; =>    This Inner Loop Header: Depth=3
	s_sleep 1
	s_wait_loadcnt_dscnt 0x0
	flat_load_b64 v[28:29], v[20:21] scope:SCOPE_SYS
	s_or_b32 s62, s62, exec_lo
	s_or_b32 s61, s61, exec_lo
                                        ; implicit-def: $vgpr2
	s_wait_xcnt 0x0
	s_and_saveexec_b32 s72, vcc_lo
	s_cbranch_execz .LBB4_1162
; %bb.1164:                             ;   in Loop: Header=BB4_1163 Depth=3
	s_cmp_lt_i32 s63, 0x270f
	s_mov_b32 s73, -1
	s_cselect_b32 s75, -1, 0
	s_cmp_gt_i32 s63, 0x270e
	s_cbranch_scc0 .LBB4_1166
; %bb.1165:                             ;   in Loop: Header=BB4_1163 Depth=3
	s_trap 2
	ds_load_b64 v[96:97], v0
	s_and_not1_b32 s63, s75, exec_lo
	s_mov_b32 s74, 0
	s_wait_storecnt 0x0
	s_wait_loadcnt_dscnt 0x0
	flat_load_b32 v2, v[96:97] scope:SCOPE_SYS
	s_wait_loadcnt_dscnt 0x0
	global_inv scope:SCOPE_SYS
	v_cmp_eq_u32_e64 s13, 0, v2
	s_and_b32 s13, s13, exec_lo
	s_delay_alu instid0(SALU_CYCLE_1)
	s_or_b32 s75, s63, s13
	s_mov_b32 s63, 0
	s_and_saveexec_b32 s76, s75
	s_cbranch_execz .LBB4_1161
	s_branch .LBB4_1160
.LBB4_1166:                             ;   in Loop: Header=BB4_1163 Depth=3
	s_add_co_i32 s63, s63, 1
	s_mov_b32 s74, -1
                                        ; implicit-def: $vgpr2
	s_and_saveexec_b32 s76, s75
	s_cbranch_execz .LBB4_1161
	s_branch .LBB4_1160
.LBB4_1167:                             ;   in Loop: Header=BB4_1157 Depth=2
	s_or_b32 exec_lo, exec_lo, s41
	s_xor_b32 s13, s60, -1
	s_delay_alu instid0(SALU_CYCLE_1) | instskip(NEXT) | instid1(SALU_CYCLE_1)
	s_and_saveexec_b32 s41, s13
	s_xor_b32 s13, exec_lo, s41
	s_cbranch_execz .LBB4_1169
; %bb.1168:                             ;   in Loop: Header=BB4_1157 Depth=2
	v_or_b32_e32 v30, 64, v30
	s_wait_storecnt 0x0
	s_wait_loadcnt_dscnt 0x0
	ds_store_b32 v0, v2
	s_trap 2
.LBB4_1169:                             ;   in Loop: Header=BB4_1157 Depth=2
	s_or_b32 exec_lo, exec_lo, s13
.LBB4_1170:                             ;   in Loop: Header=BB4_1157 Depth=2
	s_delay_alu instid0(SALU_CYCLE_1) | instskip(SKIP_3) | instid1(VALU_DEP_1)
	s_or_b32 exec_lo, exec_lo, s40
	v_and_b32_e32 v2, 0x100, v30
	s_mov_b32 s13, -1
	;;#ASMSTART
	s_wakeup
	;;#ASMEND
	v_cmp_ne_u32_e32 vcc_lo, 0, v2
	v_and_b32_e32 v2, 7, v86
                                        ; implicit-def: $vgpr86_vgpr87
	s_and_saveexec_b32 s40, vcc_lo
	s_cbranch_execz .LBB4_1174
; %bb.1171:                             ;   in Loop: Header=BB4_1157 Depth=2
	s_delay_alu instid0(VALU_DEP_1)
	v_mad_nc_u64_u32 v[96:97], v2, 24, v[6:7]
	s_mov_b32 s41, exec_lo
                                        ; implicit-def: $vgpr86_vgpr87
	flat_load_b32 v9, v[96:97]
	s_wait_loadcnt_dscnt 0x0
	v_cmp_ne_u32_e32 vcc_lo, 1, v9
	s_wait_xcnt 0x0
	v_cmpx_eq_u32_e32 1, v9
	s_cbranch_execz .LBB4_1173
; %bb.1172:                             ;   in Loop: Header=BB4_1157 Depth=2
	flat_load_b32 v86, v[96:97] offset:4 scope:SCOPE_SYS
	s_wait_loadcnt_dscnt 0x0
	v_ashrrev_i32_e32 v87, 31, v86
	s_delay_alu instid0(VALU_DEP_1)
	v_lshrrev_b64 v[86:87], 2, v[86:87]
.LBB4_1173:                             ;   in Loop: Header=BB4_1157 Depth=2
	s_wait_xcnt 0x0
	s_or_b32 exec_lo, exec_lo, s41
	s_delay_alu instid0(SALU_CYCLE_1)
	s_or_not1_b32 s13, vcc_lo, exec_lo
.LBB4_1174:                             ;   in Loop: Header=BB4_1157 Depth=2
	s_or_b32 exec_lo, exec_lo, s40
	s_and_saveexec_b32 s40, s13
; %bb.1175:                             ;   in Loop: Header=BB4_1157 Depth=2
	v_mul_u64_e32 v[86:87], v[2:3], v[22:23]
; %bb.1176:                             ;   in Loop: Header=BB4_1157 Depth=2
	s_or_b32 exec_lo, exec_lo, s40
	v_and_b32_e32 v2, 0x2000, v30
	s_delay_alu instid0(VALU_DEP_2)
	v_lshl_add_u64 v[86:87], v[86:87], 2, v[24:25]
	s_mov_b32 s13, exec_lo
	ds_store_b64 v0, v[86:87] offset:720
	v_cmpx_ne_u32_e32 0, v2
	s_cbranch_execz .LBB4_1178
; %bb.1177:                             ;   in Loop: Header=BB4_1157 Depth=2
	ds_load_b64 v[86:87], v0 offset:872
	s_wait_dscnt 0x0
	v_add_nc_u64_e32 v[86:87], 1, v[86:87]
	ds_store_b64 v0, v[86:87] offset:872
.LBB4_1178:                             ;   in Loop: Header=BB4_1157 Depth=2
	s_or_b32 exec_lo, exec_lo, s13
	v_mov_b64_e32 v[86:87], v[10:11]
.LBB4_1179:                             ;   in Loop: Header=BB4_1157 Depth=2
	s_or_b32 exec_lo, exec_lo, s27
	s_xor_b32 s13, s18, -1
	s_delay_alu instid0(SALU_CYCLE_1) | instskip(NEXT) | instid1(SALU_CYCLE_1)
	s_and_b32 s13, exec_lo, s13
	s_or_b32 s15, s13, s15
	s_and_saveexec_b32 s13, s2
	s_cbranch_execz .LBB4_1198
; %bb.1180:                             ;   in Loop: Header=BB4_1157 Depth=2
	s_and_saveexec_b32 s18, s3
	s_delay_alu instid0(SALU_CYCLE_1)
	s_xor_b32 s18, exec_lo, s18
	s_cbranch_execz .LBB4_1195
; %bb.1181:                             ;   in Loop: Header=BB4_1157 Depth=2
	s_and_saveexec_b32 s27, s6
	s_cbranch_execz .LBB4_1194
; %bb.1182:                             ;   in Loop: Header=BB4_1157 Depth=2
	s_mov_b32 s41, exec_lo
	s_mov_b32 s40, exec_lo
	v_mbcnt_lo_u32_b32 v2, s41, 0
	global_wb scope:SCOPE_DEV
	s_wait_storecnt 0x0
	s_wait_loadcnt_dscnt 0x0
	global_inv scope:SCOPE_DEV
	v_cmpx_eq_u32_e32 0, v2
	s_cbranch_execz .LBB4_1184
; %bb.1183:                             ;   in Loop: Header=BB4_1157 Depth=2
	s_bcnt1_i32_b32 s41, s41
	s_delay_alu instid0(SALU_CYCLE_1)
	v_mov_b32_e32 v2, s41
	s_wait_loadcnt 0x0
	ds_add_u64 v0, v[2:3]
	s_trap 2
.LBB4_1184:                             ;   in Loop: Header=BB4_1157 Depth=2
	s_or_b32 exec_lo, exec_lo, s40
	s_trap 2
	ds_load_b64 v[10:11], v0
	s_wait_dscnt 0x0
	v_add_nc_u64_e32 v[12:13], v[12:13], v[32:33]
	s_mov_b32 s40, exec_lo
	s_delay_alu instid0(VALU_DEP_1)
	v_cmpx_lt_u64_e64 v[10:11], v[12:13]
	s_cbranch_execz .LBB4_1193
; %bb.1185:                             ;   in Loop: Header=BB4_1157 Depth=2
	s_mov_b32 s41, 0
	s_mov_b32 s62, 0
                                        ; implicit-def: $sgpr60
                                        ; implicit-def: $sgpr61
	s_branch .LBB4_1187
.LBB4_1186:                             ;   in Loop: Header=BB4_1187 Depth=3
	s_or_b32 exec_lo, exec_lo, s72
	s_delay_alu instid0(SALU_CYCLE_1) | instskip(NEXT) | instid1(SALU_CYCLE_1)
	s_and_b32 s63, exec_lo, s73
	s_or_b32 s41, s63, s41
	s_and_not1_b32 s60, s60, exec_lo
	s_and_b32 s63, s61, exec_lo
	s_delay_alu instid0(SALU_CYCLE_1)
	s_or_b32 s60, s60, s63
	s_and_not1_b32 exec_lo, exec_lo, s41
	s_cbranch_execz .LBB4_1191
.LBB4_1187:                             ;   Parent Loop BB4_47 Depth=1
                                        ;     Parent Loop BB4_1157 Depth=2
                                        ; =>    This Inner Loop Header: Depth=3
	s_add_co_i32 s62, s62, 1
	s_delay_alu instid0(SALU_CYCLE_1) | instskip(SKIP_1) | instid1(SALU_CYCLE_1)
	s_cmp_lg_u32 s62, 0x2710
	s_cselect_b32 s63, -1, 0
	s_and_b32 vcc_lo, exec_lo, s63
	s_cbranch_vccz .LBB4_1189
; %bb.1188:                             ;   in Loop: Header=BB4_1187 Depth=3
	s_mov_b32 s73, -1
	s_or_b32 s61, s61, exec_lo
	s_and_saveexec_b32 s72, s63
	s_cbranch_execz .LBB4_1186
	s_branch .LBB4_1190
.LBB4_1189:                             ;   in Loop: Header=BB4_1187 Depth=3
	s_trap 2
	ds_load_b64 v[10:11], v0
	s_and_not1_b32 s63, s63, exec_lo
	s_mov_b32 s62, 0
	s_wait_loadcnt_dscnt 0x0
	flat_load_b32 v2, v[10:11] scope:SCOPE_SYS
	s_wait_loadcnt_dscnt 0x0
	global_inv scope:SCOPE_SYS
	v_cmp_eq_u32_e32 vcc_lo, 0, v2
	s_and_b32 s72, vcc_lo, exec_lo
	s_delay_alu instid0(SALU_CYCLE_1)
	s_or_b32 s63, s63, s72
	s_mov_b32 s73, -1
	s_or_b32 s61, s61, exec_lo
	s_and_saveexec_b32 s72, s63
	s_cbranch_execz .LBB4_1186
.LBB4_1190:                             ;   in Loop: Header=BB4_1187 Depth=3
	s_sleep 1
	s_trap 2
	ds_load_b64 v[10:11], v0
	s_wait_dscnt 0x0
	s_and_not1_b32 s61, s61, exec_lo
	v_cmp_ge_u64_e32 vcc_lo, v[10:11], v[12:13]
	s_or_not1_b32 s73, vcc_lo, exec_lo
	s_branch .LBB4_1186
.LBB4_1191:                             ;   in Loop: Header=BB4_1157 Depth=2
	s_or_b32 exec_lo, exec_lo, s41
	s_and_saveexec_b32 s41, s60
	s_delay_alu instid0(SALU_CYCLE_1)
	s_xor_b32 s41, exec_lo, s41
	s_cbranch_execz .LBB4_1193
; %bb.1192:                             ;   in Loop: Header=BB4_1157 Depth=2
	ds_store_b32 v0, v57
	s_trap 2
.LBB4_1193:                             ;   in Loop: Header=BB4_1157 Depth=2
	s_or_b32 exec_lo, exec_lo, s40
	;;#ASMSTART
	s_wakeup
	;;#ASMEND
.LBB4_1194:                             ;   in Loop: Header=BB4_1157 Depth=2
	s_or_b32 exec_lo, exec_lo, s27
.LBB4_1195:                             ;   in Loop: Header=BB4_1157 Depth=2
	s_and_not1_saveexec_b32 s18, s18
	s_cbranch_execz .LBB4_1197
; %bb.1196:                             ;   in Loop: Header=BB4_1157 Depth=2
	global_wb scope:SCOPE_DEV
	s_wait_storecnt 0x0
	s_wait_loadcnt_dscnt 0x0
	global_inv scope:SCOPE_DEV
	s_barrier_signal -1
	s_barrier_wait -1
.LBB4_1197:                             ;   in Loop: Header=BB4_1157 Depth=2
	s_or_b32 exec_lo, exec_lo, s18
.LBB4_1198:                             ;   in Loop: Header=BB4_1157 Depth=2
	s_delay_alu instid0(SALU_CYCLE_1) | instskip(SKIP_1) | instid1(VALU_DEP_1)
	s_or_b32 exec_lo, exec_lo, s13
	v_sub_nc_u32_e32 v2, v114, v8
	v_min_i32_e32 v115, v115, v2
	s_and_saveexec_b32 s13, s10
	s_delay_alu instid0(SALU_CYCLE_1)
	s_xor_b32 s18, exec_lo, s13
	s_cbranch_execz .LBB4_1202
; %bb.1199:                             ;   in Loop: Header=BB4_1157 Depth=2
	s_trap 2
	ds_load_b32 v2, v0
	v_cmp_lt_i32_e32 vcc_lo, 0, v115
	s_wait_dscnt 0x0
	v_readfirstlane_b32 s13, v2
	v_and_b32_e32 v2, 16, v30
	s_cmp_eq_u32 s13, 0
	s_delay_alu instid0(VALU_DEP_1) | instskip(SKIP_1) | instid1(SALU_CYCLE_1)
	v_cmp_ne_u32_e64 s13, 0, v2
	s_cselect_b32 s27, -1, 0
	s_and_b32 s27, vcc_lo, s27
	s_delay_alu instid0(SALU_CYCLE_1) | instskip(NEXT) | instid1(SALU_CYCLE_1)
	s_and_b32 s27, s13, s27
	s_and_saveexec_b32 s13, s27
	s_cbranch_execz .LBB4_1201
; %bb.1200:                             ;   in Loop: Header=BB4_1157 Depth=2
	global_wb scope:SCOPE_SYS
	s_wait_loadcnt 0x0
	s_wait_storecnt 0x0
	global_inv scope:SCOPE_SYS
.LBB4_1201:                             ;   in Loop: Header=BB4_1157 Depth=2
	s_or_b32 exec_lo, exec_lo, s13
.LBB4_1202:                             ;   in Loop: Header=BB4_1157 Depth=2
	s_and_not1_saveexec_b32 s13, s18
	s_cbranch_execz .LBB4_1221
; %bb.1203:                             ;   in Loop: Header=BB4_1157 Depth=2
	s_and_saveexec_b32 s18, s3
	s_delay_alu instid0(SALU_CYCLE_1)
	s_xor_b32 s18, exec_lo, s18
	s_cbranch_execz .LBB4_1218
; %bb.1204:                             ;   in Loop: Header=BB4_1157 Depth=2
	s_and_saveexec_b32 s27, s6
	s_cbranch_execz .LBB4_1217
; %bb.1205:                             ;   in Loop: Header=BB4_1157 Depth=2
	s_mov_b32 s41, exec_lo
	s_mov_b32 s40, exec_lo
	v_mbcnt_lo_u32_b32 v2, s41, 0
	;;#ASMSTART
	s_waitcnt lgkmcnt(0) vmcnt(0)
	;;#ASMEND
	s_delay_alu instid0(VALU_DEP_1)
	v_cmpx_eq_u32_e32 0, v2
	s_cbranch_execz .LBB4_1207
; %bb.1206:                             ;   in Loop: Header=BB4_1157 Depth=2
	s_bcnt1_i32_b32 s41, s41
	s_delay_alu instid0(SALU_CYCLE_1)
	v_mov_b32_e32 v2, s41
	s_wait_storecnt 0x0
	s_wait_loadcnt_dscnt 0x0
	ds_add_u64 v0, v[2:3]
	s_trap 2
.LBB4_1207:                             ;   in Loop: Header=BB4_1157 Depth=2
	s_or_b32 exec_lo, exec_lo, s40
	s_trap 2
	ds_load_b64 v[10:11], v0
	s_wait_dscnt 0x0
	v_add_nc_u64_e32 v[12:13], v[12:13], v[32:33]
	s_mov_b32 s40, exec_lo
	s_delay_alu instid0(VALU_DEP_1)
	v_cmpx_lt_u64_e64 v[10:11], v[12:13]
	s_cbranch_execz .LBB4_1216
; %bb.1208:                             ;   in Loop: Header=BB4_1157 Depth=2
	s_mov_b32 s41, 0
	s_mov_b32 s62, 0
                                        ; implicit-def: $sgpr60
                                        ; implicit-def: $sgpr61
	s_branch .LBB4_1210
.LBB4_1209:                             ;   in Loop: Header=BB4_1210 Depth=3
	s_or_b32 exec_lo, exec_lo, s72
	s_delay_alu instid0(SALU_CYCLE_1) | instskip(NEXT) | instid1(SALU_CYCLE_1)
	s_and_b32 s63, exec_lo, s73
	s_or_b32 s41, s63, s41
	s_and_not1_b32 s60, s60, exec_lo
	s_and_b32 s63, s61, exec_lo
	s_delay_alu instid0(SALU_CYCLE_1)
	s_or_b32 s60, s60, s63
	s_and_not1_b32 exec_lo, exec_lo, s41
	s_cbranch_execz .LBB4_1214
.LBB4_1210:                             ;   Parent Loop BB4_47 Depth=1
                                        ;     Parent Loop BB4_1157 Depth=2
                                        ; =>    This Inner Loop Header: Depth=3
	s_add_co_i32 s62, s62, 1
	s_delay_alu instid0(SALU_CYCLE_1) | instskip(SKIP_1) | instid1(SALU_CYCLE_1)
	s_cmp_lg_u32 s62, 0x2710
	s_cselect_b32 s63, -1, 0
	s_and_b32 vcc_lo, exec_lo, s63
	s_cbranch_vccz .LBB4_1212
; %bb.1211:                             ;   in Loop: Header=BB4_1210 Depth=3
	s_mov_b32 s73, -1
	s_or_b32 s61, s61, exec_lo
	s_and_saveexec_b32 s72, s63
	s_cbranch_execz .LBB4_1209
	s_branch .LBB4_1213
.LBB4_1212:                             ;   in Loop: Header=BB4_1210 Depth=3
	s_trap 2
	ds_load_b64 v[10:11], v0
	s_and_not1_b32 s63, s63, exec_lo
	s_mov_b32 s62, 0
	s_wait_storecnt 0x0
	s_wait_loadcnt_dscnt 0x0
	flat_load_b32 v2, v[10:11] scope:SCOPE_SYS
	s_wait_loadcnt_dscnt 0x0
	global_inv scope:SCOPE_SYS
	v_cmp_eq_u32_e32 vcc_lo, 0, v2
	s_and_b32 s72, vcc_lo, exec_lo
	s_delay_alu instid0(SALU_CYCLE_1)
	s_or_b32 s63, s63, s72
	s_mov_b32 s73, -1
	s_or_b32 s61, s61, exec_lo
	s_and_saveexec_b32 s72, s63
	s_cbranch_execz .LBB4_1209
.LBB4_1213:                             ;   in Loop: Header=BB4_1210 Depth=3
	s_sleep 1
	s_trap 2
	ds_load_b64 v[10:11], v0
	s_wait_dscnt 0x0
	s_and_not1_b32 s61, s61, exec_lo
	v_cmp_ge_u64_e32 vcc_lo, v[10:11], v[12:13]
	s_or_not1_b32 s73, vcc_lo, exec_lo
	s_branch .LBB4_1209
.LBB4_1214:                             ;   in Loop: Header=BB4_1157 Depth=2
	s_or_b32 exec_lo, exec_lo, s41
	s_and_saveexec_b32 s41, s60
	s_delay_alu instid0(SALU_CYCLE_1)
	s_xor_b32 s41, exec_lo, s41
	s_cbranch_execz .LBB4_1216
; %bb.1215:                             ;   in Loop: Header=BB4_1157 Depth=2
	ds_store_b32 v0, v57
	s_trap 2
.LBB4_1216:                             ;   in Loop: Header=BB4_1157 Depth=2
	s_or_b32 exec_lo, exec_lo, s40
	;;#ASMSTART
	s_wakeup
	;;#ASMEND
.LBB4_1217:                             ;   in Loop: Header=BB4_1157 Depth=2
	s_or_b32 exec_lo, exec_lo, s27
.LBB4_1218:                             ;   in Loop: Header=BB4_1157 Depth=2
	s_and_not1_saveexec_b32 s18, s18
	s_cbranch_execz .LBB4_1220
; %bb.1219:                             ;   in Loop: Header=BB4_1157 Depth=2
	;;#ASMSTART
	s_waitcnt lgkmcnt(0) vmcnt(0)
	;;#ASMEND
	s_barrier_signal -1
	s_barrier_wait -1
.LBB4_1220:                             ;   in Loop: Header=BB4_1157 Depth=2
	s_or_b32 exec_lo, exec_lo, s18
.LBB4_1221:                             ;   in Loop: Header=BB4_1157 Depth=2
	s_delay_alu instid0(SALU_CYCLE_1) | instskip(SKIP_2) | instid1(VALU_DEP_1)
	s_or_b32 exec_lo, exec_lo, s13
	v_and_b32_e32 v2, 32, v30
	s_mov_b32 s13, exec_lo
	v_cmpx_ne_u32_e32 0, v2
	s_cbranch_execz .LBB4_1156
; %bb.1222:                             ;   in Loop: Header=BB4_1157 Depth=2
	v_add_nc_u64_e32 v[86:87], 2, v[86:87]
	global_wb scope:SCOPE_SYS
	s_wait_storecnt 0x0
	s_wait_loadcnt_dscnt 0x0
	flat_store_b64 v[20:21], v[86:87] scope:SCOPE_SYS
	s_branch .LBB4_1156
.LBB4_1223:
	s_or_b32 exec_lo, exec_lo, s59
.LBB4_1224:
	s_delay_alu instid0(SALU_CYCLE_1) | instskip(SKIP_2) | instid1(VALU_DEP_1)
	s_or_b32 exec_lo, exec_lo, s43
	v_and_b32_e32 v0, 0x800, v30
	s_mov_b32 s1, exec_lo
	v_cmpx_eq_u32_e32 0, v0
	s_cbranch_execz .LBB4_1257
; %bb.1225:
	v_and_b32_e32 v0, 48, v30
	s_mov_b32 s0, exec_lo
	s_delay_alu instid0(VALU_DEP_1)
	v_cmpx_ne_u32_e32 0, v0
	s_cbranch_execz .LBB4_1227
; %bb.1226:
	flat_store_b64 v[18:19], v[86:87] offset:104
.LBB4_1227:
	s_wait_xcnt 0x0
	s_or_b32 exec_lo, exec_lo, s0
	v_and_b32_e32 v0, 0x88, v30
	s_mov_b32 s2, exec_lo
	s_delay_alu instid0(VALU_DEP_1)
	v_cmpx_eq_u32_e32 0x88, v0
	s_cbranch_execz .LBB4_1237
; %bb.1228:
	v_add_nc_u32_e32 v0, 6, v86
	s_mov_b32 s3, 0
	s_delay_alu instid0(VALU_DEP_1) | instskip(NEXT) | instid1(VALU_DEP_1)
	v_and_b32_e32 v0, 7, v0
	v_mad_nc_u64_u32 v[2:3], v0, 24, v[6:7]
	v_and_b32_e32 v0, 64, v30
	s_delay_alu instid0(VALU_DEP_1)
	v_cmp_eq_u32_e64 s0, 0, v0
	flat_load_b64 v[4:5], v[2:3] offset:8 scope:SCOPE_SYS
	s_wait_loadcnt_dscnt 0x0
	v_cmp_ne_u64_e32 vcc_lo, -1, v[4:5]
	s_and_b32 s0, vcc_lo, s0
	s_wait_xcnt 0x0
	s_and_b32 exec_lo, exec_lo, s0
	s_cbranch_execz .LBB4_1237
; %bb.1229:
	s_mov_b32 s5, 0
                                        ; implicit-def: $sgpr0
                                        ; implicit-def: $sgpr4
	s_branch .LBB4_1232
.LBB4_1230:                             ;   in Loop: Header=BB4_1232 Depth=1
	flat_load_b64 v[4:5], v[2:3] offset:8 scope:SCOPE_SYS
	s_wait_loadcnt 0x0
	s_and_not1_b32 s4, s4, exec_lo
	s_wait_dscnt 0x0
	v_cmp_eq_u64_e32 vcc_lo, -1, v[4:5]
	s_or_not1_b32 s7, vcc_lo, exec_lo
.LBB4_1231:                             ;   in Loop: Header=BB4_1232 Depth=1
	s_wait_xcnt 0x0
	s_or_b32 exec_lo, exec_lo, s10
	s_delay_alu instid0(SALU_CYCLE_1) | instskip(NEXT) | instid1(SALU_CYCLE_1)
	s_and_b32 s6, exec_lo, s7
	s_or_b32 s3, s6, s3
	s_and_not1_b32 s0, s0, exec_lo
	s_and_b32 s6, s4, exec_lo
	s_delay_alu instid0(SALU_CYCLE_1)
	s_or_b32 s0, s0, s6
	s_and_not1_b32 exec_lo, exec_lo, s3
	s_cbranch_execz .LBB4_1235
.LBB4_1232:                             ; =>This Inner Loop Header: Depth=1
	s_cmp_lt_i32 s5, 0x270f
	s_cselect_b32 s6, -1, 0
	s_delay_alu instid0(SALU_CYCLE_1)
	s_and_b32 vcc_lo, exec_lo, s6
	s_cbranch_vccnz .LBB4_1234
; %bb.1233:                             ;   in Loop: Header=BB4_1232 Depth=1
	s_trap 2
	ds_load_b64 v[4:5], v0
	s_and_not1_b32 s6, s6, exec_lo
	s_mov_b32 s5, 0
	s_wait_storecnt_dscnt 0x0
	flat_load_b32 v0, v[4:5] scope:SCOPE_SYS
	s_wait_loadcnt_dscnt 0x0
	global_inv scope:SCOPE_SYS
	v_cmp_eq_u32_e32 vcc_lo, 0, v0
	s_and_b32 s7, vcc_lo, exec_lo
	s_delay_alu instid0(SALU_CYCLE_1)
	s_or_b32 s6, s6, s7
	s_mov_b32 s7, -1
	s_or_b32 s4, s4, exec_lo
	s_wait_xcnt 0x0
	s_and_saveexec_b32 s10, s6
	s_cbranch_execz .LBB4_1231
	s_branch .LBB4_1230
.LBB4_1234:                             ;   in Loop: Header=BB4_1232 Depth=1
	s_add_co_i32 s5, s5, 1
                                        ; implicit-def: $vgpr0
	s_mov_b32 s7, -1
	s_or_b32 s4, s4, exec_lo
	s_and_saveexec_b32 s10, s6
	s_cbranch_execz .LBB4_1231
	s_branch .LBB4_1230
.LBB4_1235:
	s_or_b32 exec_lo, exec_lo, s3
	s_and_saveexec_b32 s3, s0
	s_delay_alu instid0(SALU_CYCLE_1)
	s_xor_b32 s3, exec_lo, s3
	s_cbranch_execz .LBB4_1237
; %bb.1236:
	s_wait_loadcnt 0x0
	s_wait_storecnt 0x0
	ds_store_b32 v0, v0
	s_trap 2
.LBB4_1237:
	s_or_b32 exec_lo, exec_lo, s2
	v_and_b32_e32 v0, 0x2000, v30
	s_mov_b32 s0, exec_lo
	s_delay_alu instid0(VALU_DEP_1)
	v_cmpx_ne_u32_e32 0, v0
	s_cbranch_execz .LBB4_1239
; %bb.1238:
	s_trap 2
	ds_load_b64 v[2:3], v0
	s_wait_dscnt 0x0
	flat_store_b64 v[16:17], v[2:3] offset:16
.LBB4_1239:
	s_wait_xcnt 0x0
	s_or_b32 exec_lo, exec_lo, s0
	v_cmp_ne_u32_e32 vcc_lo, 32, v1
	s_and_b32 exec_lo, exec_lo, vcc_lo
	s_cbranch_execz .LBB4_1257
; %bb.1240:
	s_mov_b32 s0, exec_lo
	v_cmpx_ne_u32_e64 v1, v56
	s_xor_b32 s0, exec_lo, s0
	s_cbranch_execz .LBB4_1255
; %bb.1241:
	v_and_b32_e32 v0, 31, v31
	s_mov_b32 s2, exec_lo
	s_delay_alu instid0(VALU_DEP_1)
	v_cmpx_eq_u32_e32 0, v0
	s_cbranch_execz .LBB4_1254
; %bb.1242:
	s_mov_b32 s4, exec_lo
	s_mov_b32 s3, exec_lo
	v_mbcnt_lo_u32_b32 v0, s4, 0
	global_wb scope:SCOPE_DEV
	s_wait_storecnt 0x0
	s_wait_loadcnt_dscnt 0x0
	global_inv scope:SCOPE_DEV
	v_cmpx_eq_u32_e32 0, v0
	s_cbranch_execz .LBB4_1244
; %bb.1243:
	s_bcnt1_i32_b32 s4, s4
	s_delay_alu instid0(SALU_CYCLE_1)
	v_dual_mov_b32 v3, 0 :: v_dual_mov_b32 v2, s4
	s_wait_loadcnt 0x0
	ds_add_u64 v0, v[2:3]
	s_trap 2
.LBB4_1244:
	s_or_b32 exec_lo, exec_lo, s3
	s_trap 2
	ds_load_b64 v[2:3], v0
	s_wait_dscnt 0x0
	v_dual_mov_b32 v1, 0 :: v_dual_lshrrev_b32 v0, 5, v1
	s_mov_b32 s3, exec_lo
	s_delay_alu instid0(VALU_DEP_1) | instskip(NEXT) | instid1(VALU_DEP_1)
	v_add_nc_u64_e32 v[0:1], v[12:13], v[0:1]
	v_cmpx_lt_u64_e64 v[2:3], v[0:1]
	s_cbranch_execz .LBB4_1253
; %bb.1245:
	s_mov_b32 s4, 0
	s_mov_b32 s7, 0
                                        ; implicit-def: $sgpr5
                                        ; implicit-def: $sgpr6
	s_branch .LBB4_1247
.LBB4_1246:                             ;   in Loop: Header=BB4_1247 Depth=1
	s_or_b32 exec_lo, exec_lo, s11
	s_delay_alu instid0(SALU_CYCLE_1) | instskip(NEXT) | instid1(SALU_CYCLE_1)
	s_and_b32 s10, exec_lo, s12
	s_or_b32 s4, s10, s4
	s_and_not1_b32 s5, s5, exec_lo
	s_and_b32 s10, s6, exec_lo
	s_delay_alu instid0(SALU_CYCLE_1)
	s_or_b32 s5, s5, s10
	s_and_not1_b32 exec_lo, exec_lo, s4
	s_cbranch_execz .LBB4_1251
.LBB4_1247:                             ; =>This Inner Loop Header: Depth=1
	s_add_co_i32 s7, s7, 1
	s_delay_alu instid0(SALU_CYCLE_1) | instskip(SKIP_1) | instid1(SALU_CYCLE_1)
	s_cmp_lg_u32 s7, 0x2710
	s_cselect_b32 s10, -1, 0
	s_and_b32 vcc_lo, exec_lo, s10
	s_cbranch_vccz .LBB4_1249
; %bb.1248:                             ;   in Loop: Header=BB4_1247 Depth=1
	s_mov_b32 s12, -1
	s_or_b32 s6, s6, exec_lo
	s_and_saveexec_b32 s11, s10
	s_cbranch_execz .LBB4_1246
	s_branch .LBB4_1250
.LBB4_1249:                             ;   in Loop: Header=BB4_1247 Depth=1
	s_trap 2
	ds_load_b64 v[2:3], v0
	s_and_not1_b32 s10, s10, exec_lo
	s_mov_b32 s7, 0
	s_wait_loadcnt_dscnt 0x0
	flat_load_b32 v2, v[2:3] scope:SCOPE_SYS
	s_wait_loadcnt_dscnt 0x0
	global_inv scope:SCOPE_SYS
	v_cmp_eq_u32_e32 vcc_lo, 0, v2
	s_and_b32 s11, vcc_lo, exec_lo
	s_delay_alu instid0(SALU_CYCLE_1)
	s_or_b32 s10, s10, s11
	s_mov_b32 s12, -1
	s_or_b32 s6, s6, exec_lo
	s_and_saveexec_b32 s11, s10
	s_cbranch_execz .LBB4_1246
.LBB4_1250:                             ;   in Loop: Header=BB4_1247 Depth=1
	s_sleep 1
	s_trap 2
	ds_load_b64 v[2:3], v0
	s_wait_dscnt 0x0
	s_and_not1_b32 s6, s6, exec_lo
	v_cmp_ge_u64_e32 vcc_lo, v[2:3], v[0:1]
	s_or_not1_b32 s12, vcc_lo, exec_lo
	s_branch .LBB4_1246
.LBB4_1251:
	s_or_b32 exec_lo, exec_lo, s4
	s_and_saveexec_b32 s4, s5
	s_delay_alu instid0(SALU_CYCLE_1)
	s_xor_b32 s4, exec_lo, s4
	s_cbranch_execz .LBB4_1253
; %bb.1252:
	v_mov_b32_e32 v0, 1
	ds_store_b32 v0, v0
	s_trap 2
.LBB4_1253:
	s_or_b32 exec_lo, exec_lo, s3
	;;#ASMSTART
	s_wakeup
	;;#ASMEND
.LBB4_1254:
	s_or_b32 exec_lo, exec_lo, s2
.LBB4_1255:
	s_and_not1_saveexec_b32 s0, s0
	s_cbranch_execz .LBB4_1257
; %bb.1256:
	global_wb scope:SCOPE_DEV
	s_wait_storecnt 0x0
	s_wait_loadcnt_dscnt 0x0
	global_inv scope:SCOPE_DEV
	s_barrier_signal -1
	s_barrier_wait -1
.LBB4_1257:
	s_or_b32 exec_lo, exec_lo, s1
.LBB4_1258:
	s_and_not1_saveexec_b32 s21, s42
	s_cbranch_execz .LBB4_1260
; %bb.1259:
	s_get_pc_i64 s[0:1]
	s_add_nc_u64 s[0:1], s[0:1], __PRETTY_FUNCTION__._ZN10PrimitivesIf8FuncProdIfE12FanSymmetricILi1EELi0E11ProtoSimpleILi2ELi2ELi0ELi2ELi0ELi0EELi0ELb0ELi0ELi0ELi0EEC2EiiPKiS8_PKvPvmhhhP15ncclDevWorkCollP14ncclDevWorkP2pii@rel64+4
	s_get_pc_i64 s[2:3]
	s_add_nc_u64 s[2:3], s[2:3], __assert_fail@rel64+4
	v_dual_mov_b32 v0, s0 :: v_dual_mov_b32 v1, s1
	s_swap_pc_i64 s[30:31], s[2:3]
	; divergent unreachable
.LBB4_1260:
	s_or_b32 exec_lo, exec_lo, s21
	s_clause 0x1f
	scratch_load_b32 v95, off, s33
	scratch_load_b32 v94, off, s33 offset:4
	scratch_load_b32 v93, off, s33 offset:8
	;; [unrolled: 1-line block ×31, first 2 shown]
	v_readlane_b32 s30, v104, 0
	v_readlane_b32 s31, v104, 1
	s_mov_b32 s32, s33
	s_wait_xcnt 0x0
	s_or_saveexec_b32 s0, -1
	scratch_load_b32 v104, off, s33 offset:128 ; 4-byte Folded Reload
	s_wait_xcnt 0x0
	s_mov_b32 exec_lo, s0
	s_mov_b32 s33, s79
	s_wait_loadcnt_dscnt 0x0
	s_set_pc_i64 s[30:31]
.Lfunc_end4:
	.size	_ZN12_GLOBAL__N_17runRingIf8FuncProdIfE11ProtoSimpleILi2ELi2ELi0ELi2ELi0ELi0EELi0ELi0ELi2ELi0EEEviiP15ncclDevWorkColl, .Lfunc_end4-_ZN12_GLOBAL__N_17runRingIf8FuncProdIfE11ProtoSimpleILi2ELi2ELi0ELi2ELi0ELi0EELi0ELi0ELi2ELi0EEEviiP15ncclDevWorkColl
                                        ; -- End function
	.set .L_ZN12_GLOBAL__N_17runRingIf8FuncProdIfE11ProtoSimpleILi2ELi2ELi0ELi2ELi0ELi0EELi0ELi0ELi2ELi0EEEviiP15ncclDevWorkColl.num_vgpr, max(120, .L__assert_fail.num_vgpr)
	.set .L_ZN12_GLOBAL__N_17runRingIf8FuncProdIfE11ProtoSimpleILi2ELi2ELi0ELi2ELi0ELi0EELi0ELi0ELi2ELi0EEEviiP15ncclDevWorkColl.num_agpr, max(0, .L__assert_fail.num_agpr)
	.set .L_ZN12_GLOBAL__N_17runRingIf8FuncProdIfE11ProtoSimpleILi2ELi2ELi0ELi2ELi0ELi0EELi0ELi0ELi2ELi0EEEviiP15ncclDevWorkColl.numbered_sgpr, max(80, .L__assert_fail.numbered_sgpr)
	.set .L_ZN12_GLOBAL__N_17runRingIf8FuncProdIfE11ProtoSimpleILi2ELi2ELi0ELi2ELi0ELi0EELi0ELi0ELi2ELi0EEEviiP15ncclDevWorkColl.num_named_barrier, max(0, .L__assert_fail.num_named_barrier)
	.set .L_ZN12_GLOBAL__N_17runRingIf8FuncProdIfE11ProtoSimpleILi2ELi2ELi0ELi2ELi0ELi0EELi0ELi0ELi2ELi0EEEviiP15ncclDevWorkColl.private_seg_size, 144+max(.L__assert_fail.private_seg_size)
	.set .L_ZN12_GLOBAL__N_17runRingIf8FuncProdIfE11ProtoSimpleILi2ELi2ELi0ELi2ELi0ELi0EELi0ELi0ELi2ELi0EEEviiP15ncclDevWorkColl.uses_vcc, or(1, .L__assert_fail.uses_vcc)
	.set .L_ZN12_GLOBAL__N_17runRingIf8FuncProdIfE11ProtoSimpleILi2ELi2ELi0ELi2ELi0ELi0EELi0ELi0ELi2ELi0EEEviiP15ncclDevWorkColl.uses_flat_scratch, or(1, .L__assert_fail.uses_flat_scratch)
	.set .L_ZN12_GLOBAL__N_17runRingIf8FuncProdIfE11ProtoSimpleILi2ELi2ELi0ELi2ELi0ELi0EELi0ELi0ELi2ELi0EEEviiP15ncclDevWorkColl.has_dyn_sized_stack, or(0, .L__assert_fail.has_dyn_sized_stack)
	.set .L_ZN12_GLOBAL__N_17runRingIf8FuncProdIfE11ProtoSimpleILi2ELi2ELi0ELi2ELi0ELi0EELi0ELi0ELi2ELi0EEEviiP15ncclDevWorkColl.has_recursion, or(1, .L__assert_fail.has_recursion)
	.set .L_ZN12_GLOBAL__N_17runRingIf8FuncProdIfE11ProtoSimpleILi2ELi2ELi0ELi2ELi0ELi0EELi0ELi0ELi2ELi0EEEviiP15ncclDevWorkColl.has_indirect_call, or(0, .L__assert_fail.has_indirect_call)
	.section	.AMDGPU.csdata,"",@progbits
; Function info:
; codeLenInByte = 42740
; TotalNumSgprs: 82
; NumVgprs: 120
; ScratchSize: 208
; MemoryBound: 1
	.text
	.p2align	2                               ; -- Begin function _Z48ncclDevFunc_AllReduce_RING_SIMPLE_Prod_f32_0_0_2v
	.type	_Z48ncclDevFunc_AllReduce_RING_SIMPLE_Prod_f32_0_0_2v,@function
_Z48ncclDevFunc_AllReduce_RING_SIMPLE_Prod_f32_0_0_2v: ; @_Z48ncclDevFunc_AllReduce_RING_SIMPLE_Prod_f32_0_0_2v
; %bb.0:
	s_wait_loadcnt_dscnt 0x0
	s_wait_kmcnt 0x0
	s_mov_b32 s95, s33
	s_mov_b32 s33, s32
	s_or_saveexec_b32 s0, -1
	scratch_store_b32 off, v42, s33 offset:12 ; 4-byte Folded Spill
	s_wait_xcnt 0x0
	s_mov_b32 exec_lo, s0
	s_add_co_i32 s32, s32, 32
	s_clause 0x2
	scratch_store_b32 off, v40, s33 offset:8
	; meta instruction
	scratch_store_b32 off, v41, s33 offset:4
	; meta instruction
	scratch_store_b32 off, v104, s33
	v_writelane_b32 v42, s30, 0
	v_writelane_b32 v42, s31, 1
	s_trap 2
	ds_load_b32 v0, v0
	s_wait_xcnt 0x2
	v_mov_b32_e32 v40, v31
	s_wait_dscnt 0x0
	v_cmp_gt_i32_e32 vcc_lo, 1, v0
	s_cbranch_vccnz .LBB5_8
; %bb.1:
	s_wait_xcnt 0x1
	v_and_b32_e32 v41, 0x3ff, v40
	s_mov_b32 s90, s12
	s_mov_b64 s[88:89], s[8:9]
	s_mov_b32 s91, 0
	s_get_pc_i64 s[92:93]
	s_add_nc_u64 s[92:93], s[92:93], _ZN12_GLOBAL__N_17runRingIf8FuncProdIfE11ProtoSimpleILi2ELi2ELi0ELi2ELi0ELi0EELi0ELi0ELi2ELi0EEEviiP15ncclDevWorkColl@rel64+4
	s_branch .LBB5_3
.LBB5_2:                                ;   in Loop: Header=BB5_3 Depth=1
	s_or_b32 exec_lo, exec_lo, s94
	s_trap 2
	ds_load_b32 v0, v0
	s_add_co_i32 s91, s91, 1
	s_wait_dscnt 0x0
	v_cmp_lt_i32_e32 vcc_lo, s91, v0
	s_cbranch_vccz .LBB5_8
.LBB5_3:                                ; =>This Inner Loop Header: Depth=1
	s_trap 2
	ds_load_b32 v0, v0
	s_cmp_eq_u32 s91, 0
	s_cbranch_scc1 .LBB5_6
; %bb.4:                                ;   in Loop: Header=BB5_3 Depth=1
	s_trap 2
	s_wait_dscnt 0x0
	ds_load_b32 v1, v0
	s_wait_dscnt 0x0
	v_xor_b32_e32 v1, v1, v0
	s_delay_alu instid0(VALU_DEP_1) | instskip(NEXT) | instid1(VALU_DEP_1)
	v_and_b32_e32 v1, 0xff0000, v1
	v_cmp_eq_u32_e32 vcc_lo, 0, v1
	s_cbranch_vccnz .LBB5_6
; %bb.5:                                ;   in Loop: Header=BB5_3 Depth=1
	s_wait_storecnt 0x0
	s_barrier_signal -1
	s_barrier_wait -1
	ds_load_b32 v0, v0
.LBB5_6:                                ;   in Loop: Header=BB5_3 Depth=1
	s_wait_dscnt 0x0
	v_lshrrev_b32_e32 v0, 11, v0
	s_mov_b32 s94, exec_lo
	s_delay_alu instid0(VALU_DEP_1) | instskip(SKIP_1) | instid1(VALU_DEP_1)
	v_and_b32_e32 v1, 0x1fe0, v0
	s_wait_xcnt 0x0
	v_cmpx_lt_u32_e64 v41, v1
	s_cbranch_execz .LBB5_2
; %bb.7:                                ;   in Loop: Header=BB5_3 Depth=1
	s_mov_b64 s[0:1], src_shared_base
	v_dual_mov_b32 v31, v40 :: v_dual_mov_b32 v0, v41
	v_mov_b32_e32 v3, s1
	s_mov_b64 s[8:9], s[88:89]
	s_mov_b32 s12, s90
	s_swap_pc_i64 s[30:31], s[92:93]
	s_branch .LBB5_2
.LBB5_8:
	s_clause 0x2
	scratch_load_b32 v104, off, s33
	scratch_load_b32 v41, off, s33 offset:4
	scratch_load_b32 v40, off, s33 offset:8
	v_readlane_b32 s30, v42, 0
	v_readlane_b32 s31, v42, 1
	s_mov_b32 s32, s33
	s_wait_xcnt 0x0
	s_or_saveexec_b32 s0, -1
	scratch_load_b32 v42, off, s33 offset:12 ; 4-byte Folded Reload
	s_wait_xcnt 0x0
	s_mov_b32 exec_lo, s0
	s_mov_b32 s33, s95
	s_wait_loadcnt 0x0
	s_set_pc_i64 s[30:31]
.Lfunc_end5:
	.size	_Z48ncclDevFunc_AllReduce_RING_SIMPLE_Prod_f32_0_0_2v, .Lfunc_end5-_Z48ncclDevFunc_AllReduce_RING_SIMPLE_Prod_f32_0_0_2v
                                        ; -- End function
	.set .L_Z48ncclDevFunc_AllReduce_RING_SIMPLE_Prod_f32_0_0_2v.num_vgpr, max(105, .L_ZN12_GLOBAL__N_17runRingIf8FuncProdIfE11ProtoSimpleILi2ELi2ELi0ELi2ELi0ELi0EELi0ELi0ELi2ELi0EEEviiP15ncclDevWorkColl.num_vgpr)
	.set .L_Z48ncclDevFunc_AllReduce_RING_SIMPLE_Prod_f32_0_0_2v.num_agpr, max(0, .L_ZN12_GLOBAL__N_17runRingIf8FuncProdIfE11ProtoSimpleILi2ELi2ELi0ELi2ELi0ELi0EELi0ELi0ELi2ELi0EEEviiP15ncclDevWorkColl.num_agpr)
	.set .L_Z48ncclDevFunc_AllReduce_RING_SIMPLE_Prod_f32_0_0_2v.numbered_sgpr, max(96, .L_ZN12_GLOBAL__N_17runRingIf8FuncProdIfE11ProtoSimpleILi2ELi2ELi0ELi2ELi0ELi0EELi0ELi0ELi2ELi0EEEviiP15ncclDevWorkColl.numbered_sgpr)
	.set .L_Z48ncclDevFunc_AllReduce_RING_SIMPLE_Prod_f32_0_0_2v.num_named_barrier, max(0, .L_ZN12_GLOBAL__N_17runRingIf8FuncProdIfE11ProtoSimpleILi2ELi2ELi0ELi2ELi0ELi0EELi0ELi0ELi2ELi0EEEviiP15ncclDevWorkColl.num_named_barrier)
	.set .L_Z48ncclDevFunc_AllReduce_RING_SIMPLE_Prod_f32_0_0_2v.private_seg_size, 32+max(.L_ZN12_GLOBAL__N_17runRingIf8FuncProdIfE11ProtoSimpleILi2ELi2ELi0ELi2ELi0ELi0EELi0ELi0ELi2ELi0EEEviiP15ncclDevWorkColl.private_seg_size)
	.set .L_Z48ncclDevFunc_AllReduce_RING_SIMPLE_Prod_f32_0_0_2v.uses_vcc, or(1, .L_ZN12_GLOBAL__N_17runRingIf8FuncProdIfE11ProtoSimpleILi2ELi2ELi0ELi2ELi0ELi0EELi0ELi0ELi2ELi0EEEviiP15ncclDevWorkColl.uses_vcc)
	.set .L_Z48ncclDevFunc_AllReduce_RING_SIMPLE_Prod_f32_0_0_2v.uses_flat_scratch, or(1, .L_ZN12_GLOBAL__N_17runRingIf8FuncProdIfE11ProtoSimpleILi2ELi2ELi0ELi2ELi0ELi0EELi0ELi0ELi2ELi0EEEviiP15ncclDevWorkColl.uses_flat_scratch)
	.set .L_Z48ncclDevFunc_AllReduce_RING_SIMPLE_Prod_f32_0_0_2v.has_dyn_sized_stack, or(0, .L_ZN12_GLOBAL__N_17runRingIf8FuncProdIfE11ProtoSimpleILi2ELi2ELi0ELi2ELi0ELi0EELi0ELi0ELi2ELi0EEEviiP15ncclDevWorkColl.has_dyn_sized_stack)
	.set .L_Z48ncclDevFunc_AllReduce_RING_SIMPLE_Prod_f32_0_0_2v.has_recursion, or(1, .L_ZN12_GLOBAL__N_17runRingIf8FuncProdIfE11ProtoSimpleILi2ELi2ELi0ELi2ELi0ELi0EELi0ELi0ELi2ELi0EEEviiP15ncclDevWorkColl.has_recursion)
	.set .L_Z48ncclDevFunc_AllReduce_RING_SIMPLE_Prod_f32_0_0_2v.has_indirect_call, or(0, .L_ZN12_GLOBAL__N_17runRingIf8FuncProdIfE11ProtoSimpleILi2ELi2ELi0ELi2ELi0ELi0EELi0ELi0ELi2ELi0EEEviiP15ncclDevWorkColl.has_indirect_call)
	.section	.AMDGPU.csdata,"",@progbits
; Function info:
; codeLenInByte = 464
; TotalNumSgprs: 98
; NumVgprs: 120
; ScratchSize: 240
; MemoryBound: 0
	.text
	.p2align	2                               ; -- Begin function _ZN12_GLOBAL__N_17runRingIf8FuncProdIfE11ProtoSimpleILi2ELi2ELi0ELi4ELi0ELi0EELi0ELi0ELi4ELi0EEEviiP15ncclDevWorkColl
	.type	_ZN12_GLOBAL__N_17runRingIf8FuncProdIfE11ProtoSimpleILi2ELi2ELi0ELi4ELi0ELi0EELi0ELi0ELi4ELi0EEEviiP15ncclDevWorkColl,@function
_ZN12_GLOBAL__N_17runRingIf8FuncProdIfE11ProtoSimpleILi2ELi2ELi0ELi4ELi0ELi0EELi0ELi0ELi4ELi0EEEviiP15ncclDevWorkColl: ; @_ZN12_GLOBAL__N_17runRingIf8FuncProdIfE11ProtoSimpleILi2ELi2ELi0ELi4ELi0ELi0EELi0ELi0ELi4ELi0EEEviiP15ncclDevWorkColl
; %bb.0:
	s_wait_loadcnt_dscnt 0x0
	s_wait_kmcnt 0x0
	s_mov_b32 s79, s33
	s_mov_b32 s33, s32
	s_or_saveexec_b32 s0, -1
	scratch_store_b32 off, v126, s33 offset:208 ; 4-byte Folded Spill
	s_wait_xcnt 0x0
	s_mov_b32 exec_lo, s0
	s_addk_co_i32 s32, 0xe0
	s_clause 0x2d
	scratch_store_b32 off, v40, s33 offset:180
	; meta instruction
	scratch_store_b32 off, v41, s33 offset:176
	; meta instruction
	;; [unrolled: 2-line block ×45, first 2 shown]
	scratch_store_b32 off, v125, s33
	v_writelane_b32 v126, s30, 0
	v_writelane_b32 v126, s31, 1
	s_trap 2
	flat_load_b32 v7, v[2:3]
	ds_load_b32 v6, v0
	s_mov_b32 s0, exec_lo
                                        ; implicit-def: $vgpr4_vgpr5
                                        ; implicit-def: $vgpr32_vgpr33
                                        ; kill: killed $vgpr4_vgpr5
                                        ; implicit-def: $vgpr4_vgpr5
	s_wait_dscnt 0x0
	v_readfirstlane_b32 s16, v6
	s_wait_loadcnt 0x0
	v_and_b32_e32 v8, 0xff, v7
	s_wait_xcnt 0x0
	s_delay_alu instid0(VALU_DEP_1)
	v_cmpx_ne_u32_e64 v6, v8
	s_xor_b32 s0, exec_lo, s0
	s_cbranch_execz .LBB6_6
; %bb.1:
	v_bfe_u32 v9, v7, 8, 8
	v_not_b32_e32 v8, v8
	s_mov_b32 s1, exec_lo
                                        ; implicit-def: $vgpr4_vgpr5
                                        ; implicit-def: $vgpr32_vgpr33
                                        ; kill: killed $vgpr4_vgpr5
                                        ; implicit-def: $vgpr4_vgpr5
	s_delay_alu instid0(VALU_DEP_2)
	v_cmpx_ne_u32_e64 v6, v9
	s_xor_b32 s1, exec_lo, s1
	s_cbranch_execz .LBB6_3
; %bb.2:
	s_clause 0x1
	flat_load_b128 v[10:13], v[2:3] offset:72
	flat_load_b64 v[4:5], v[2:3] offset:96
	v_add_nc_u32_e32 v6, v6, v8
	s_wait_loadcnt_dscnt 0x101
	s_delay_alu instid0(VALU_DEP_1) | instskip(SKIP_3) | instid1(VALU_DEP_3)
	v_mad_nc_u64_u32 v[8:9], v12, v6, v[10:11]
	s_wait_loadcnt_dscnt 0x0
	v_lshrrev_b64 v[32:33], 14, v[4:5]
	v_mov_b64_e32 v[4:5], v[12:13]
	v_mad_u32 v7, v13, v6, v9
	v_ashrrev_i32_e32 v6, 31, v6
	s_delay_alu instid0(VALU_DEP_1)
	v_mad_u32 v9, v12, v6, v7
	scratch_store_b64 off, v[8:9], s33 offset:184 ; 8-byte Folded Spill
                                        ; implicit-def: $vgpr9
                                        ; implicit-def: $vgpr8
.LBB6_3:
	s_wait_xcnt 0x0
	s_and_not1_saveexec_b32 s1, s1
	s_cbranch_execz .LBB6_5
; %bb.4:
	s_clause 0x1
	flat_load_b128 v[10:13], v[2:3] offset:72
	flat_load_b128 v[4:7], v[2:3] offset:88
	s_wait_loadcnt_dscnt 0x0
	v_dual_add_nc_u32 v6, v9, v8 :: v_dual_lshrrev_b32 v32, 3, v7
	s_delay_alu instid0(VALU_DEP_1) | instskip(NEXT) | instid1(VALU_DEP_1)
	v_mad_nc_u64_u32 v[10:11], v12, v6, v[10:11]
	v_mad_u32 v8, v13, v6, v11
	v_ashrrev_i32_e32 v6, 31, v6
	s_delay_alu instid0(VALU_DEP_1)
	v_mad_u32 v11, v12, v6, v8
	scratch_store_b64 off, v[10:11], s33 offset:184 ; 8-byte Folded Spill
.LBB6_5:
	s_wait_xcnt 0x0
	s_or_b32 exec_lo, exec_lo, s1
.LBB6_6:
	s_and_not1_saveexec_b32 s0, s0
	s_cbranch_execz .LBB6_8
; %bb.7:
	s_clause 0x1
	flat_load_b64 v[6:7], v[2:3] offset:96
	flat_load_b64 v[4:5], v[2:3] offset:72
	s_wait_loadcnt_dscnt 0x101
	v_lshlrev_b64_e32 v[32:33], 7, v[6:7]
	v_mov_b64_e32 v[6:7], 0
	scratch_store_b64 off, v[6:7], s33 offset:184 ; 8-byte Folded Spill
.LBB6_8:
	s_wait_xcnt 0x0
	s_or_b32 exec_lo, exec_lo, s0
	s_trap 2
	ds_load_b64 v[6:7], v0
	s_mov_b32 s1, 0
	s_mov_b32 s2, exec_lo
	s_wait_dscnt 0x0
	v_cmp_ne_u32_e32 vcc_lo, -1, v6
	v_cndmask_b32_e64 v81, 0, 1, vcc_lo
	v_cmp_ne_u32_e32 vcc_lo, -1, v7
	s_delay_alu instid0(VALU_DEP_2) | instskip(NEXT) | instid1(VALU_DEP_1)
	v_add_co_ci_u32_e64 v8, null, 0, v81, vcc_lo
	v_lshlrev_b32_e32 v6, 1, v8
	s_delay_alu instid0(VALU_DEP_1)
	v_cmpx_le_u32_e64 v6, v1
	s_xor_b32 s42, exec_lo, s2
	s_cbranch_execz .LBB6_1258
; %bb.9:
	s_clause 0x3
	flat_load_b128 v[10:13], v[2:3] offset:16
	flat_load_b64 v[34:35], v[2:3] offset:104
	flat_load_u16 v7, v[2:3] offset:8
	flat_load_b32 v6, v[2:3] offset:4
	s_trap 2
	s_load_b32 s0, s[8:9], 0x0
	s_bfe_u32 s2, ttmp6, 0x4000c
	s_and_b32 s3, ttmp6, 15
	s_add_co_i32 s2, s2, 1
	s_getreg_b32 s4, hwreg(HW_REG_IB_STS2, 6, 4)
	s_mul_i32 s2, ttmp9, s2
	v_dual_mov_b32 v9, 0 :: v_dual_mov_b32 v30, 4
	s_add_co_i32 s3, s3, s2
	s_cmp_eq_u32 s4, 0
	s_cselect_b32 s2, ttmp9, s3
	s_wait_kmcnt 0x0
	s_cmp_lt_u32 s2, s0
	s_cselect_b32 s0, 12, 18
	s_delay_alu instid0(SALU_CYCLE_1)
	s_add_nc_u64 s[0:1], s[8:9], s[0:1]
	global_load_u16 v23, v9, s[0:1]
	s_wait_xcnt 0x0
	ds_load_b32 v9, v0
	s_mov_b32 s1, exec_lo
	s_wait_dscnt 0x0
	v_readfirstlane_b32 s6, v9
	v_cmpx_ge_i32_e64 v0, v81
	s_cbranch_execz .LBB6_19
; %bb.10:
	v_cmp_ge_u32_e64 s0, v0, v8
                                        ; implicit-def: $vgpr30
	s_and_saveexec_b32 s2, s0
	s_delay_alu instid0(SALU_CYCLE_1)
	s_xor_b32 s0, exec_lo, s2
	s_cbranch_execz .LBB6_16
; %bb.11:
	v_cndmask_b32_e64 v9, 0, 1, vcc_lo
	s_mov_b32 s2, exec_lo
	s_delay_alu instid0(VALU_DEP_1) | instskip(NEXT) | instid1(VALU_DEP_1)
	v_sub_nc_u32_e32 v9, v1, v9
	v_cmpx_ge_u32_e64 v0, v9
	s_xor_b32 s2, exec_lo, s2
; %bb.12:
                                        ; implicit-def: $vgpr8
; %bb.13:
	s_delay_alu instid0(SALU_CYCLE_1)
	s_or_saveexec_b32 s2, s2
	v_mov_b32_e32 v30, 16
	s_xor_b32 exec_lo, exec_lo, s2
; %bb.14:
	v_sub_nc_u32_e32 v8, v1, v8
	s_delay_alu instid0(VALU_DEP_1)
	v_cmp_lt_i32_e32 vcc_lo, v0, v8
	v_cndmask_b32_e64 v30, 32, 0, vcc_lo
; %bb.15:
	s_or_b32 exec_lo, exec_lo, s2
.LBB6_16:
	s_and_not1_saveexec_b32 s0, s0
; %bb.17:
	v_mov_b32_e32 v30, 8
; %bb.18:
	s_or_b32 exec_lo, exec_lo, s0
.LBB6_19:
	s_delay_alu instid0(SALU_CYCLE_1) | instskip(NEXT) | instid1(VALU_DEP_1)
	s_or_b32 exec_lo, exec_lo, s1
	v_dual_mov_b32 v33, -1 :: v_dual_bitop2_b32 v8, 36, v30 bitop3:0x40
	s_delay_alu instid0(VALU_DEP_1)
	v_cmp_ne_u32_e32 vcc_lo, 0, v8
	s_and_saveexec_b32 s0, vcc_lo
	s_cbranch_execz .LBB6_21
; %bb.20:
	s_trap 2
	ds_load_b32 v33, v0
.LBB6_21:
	s_or_b32 exec_lo, exec_lo, s0
	v_and_b32_e32 v8, 24, v30
	s_mov_b32 s1, exec_lo
	s_delay_alu instid0(VALU_DEP_1)
	v_cmpx_ne_u32_e32 0, v8
	s_cbranch_execz .LBB6_23
; %bb.22:
	s_trap 2
	s_wait_dscnt 0x0
	ds_load_b32 v33, v0
.LBB6_23:
	s_or_b32 exec_lo, exec_lo, s1
	s_wait_loadcnt 0x1
	v_lshrrev_b64 v[8:9], 31, v[6:7]
	v_mov_b64_e32 v[16:17], 0
	v_mov_b64_e32 v[6:7], 0
                                        ; implicit-def: $vgpr22
                                        ; implicit-def: $vgpr96_vgpr97
                                        ; implicit-def: $vgpr24_vgpr25
                                        ; implicit-def: $vgpr28_vgpr29
                                        ; implicit-def: $vgpr20_vgpr21
	s_delay_alu instid0(VALU_DEP_3)
	v_and_b32_e32 v36, 3, v8
                                        ; implicit-def: $vgpr8_vgpr9
                                        ; kill: killed $vgpr8_vgpr9
	s_and_saveexec_b32 s0, vcc_lo
	s_cbranch_execz .LBB6_33
; %bb.24:
	s_trap 2
	ds_load_b64 v[6:7], v0
	v_and_b32_e32 v8, 0xffff, v36
	s_wait_dscnt 0x0
	v_readfirstlane_b32 s2, v6
	v_readfirstlane_b32 s3, v7
	flat_load_b64 v[6:7], v33, s[2:3] scale_offset
	s_wait_loadcnt_dscnt 0x0
	v_mad_nc_u64_u32 v[8:9], 0xa8, v8, v[6:7]
	flat_load_b32 v6, v[8:9] offset:640
	s_wait_loadcnt_dscnt 0x0
	v_cmp_eq_u32_e32 vcc_lo, 1, v6
                                        ; implicit-def: $vgpr6_vgpr7
                                        ; kill: killed $vgpr6_vgpr7
	s_wait_xcnt 0x0
	s_and_saveexec_b32 s1, vcc_lo
	s_cbranch_execz .LBB6_26
; %bb.25:
	flat_load_b64 v[14:15], v[8:9] offset:648
	v_or_b32_e32 v30, 0x2000, v30
	s_wait_loadcnt_dscnt 0x0
	flat_load_b64 v[6:7], v[14:15]
	s_trap 2
	scratch_store_b64 off, v[14:15], s33 offset:200 ; 8-byte Folded Spill
	s_wait_loadcnt_dscnt 0x0
	ds_store_b64 v0, v[6:7]
	flat_load_b64 v[6:7], v[14:15] offset:8
	s_wait_loadcnt_dscnt 0x0
	ds_store_b64 v0, v[6:7]
	flat_load_b64 v[6:7], v[14:15] offset:16
	s_wait_loadcnt_dscnt 0x0
	ds_store_b64 v0, v[6:7]
.LBB6_26:
	s_wait_xcnt 0x0
	s_or_b32 exec_lo, exec_lo, s1
	flat_load_b64 v[6:7], v[8:9] offset:608
	s_mov_b32 s1, exec_lo
                                        ; implicit-def: $vgpr20_vgpr21
	s_wait_loadcnt_dscnt 0x0
	v_add_nc_u64_e32 v[96:97], 3, v[6:7]
	v_and_b32_e32 v6, 32, v30
	s_delay_alu instid0(VALU_DEP_2) | instskip(SKIP_1) | instid1(VALU_DEP_2)
	v_and_b32_e32 v96, -4, v96
	s_wait_xcnt 0x0
	v_cmpx_ne_u32_e32 0, v6
	s_cbranch_execz .LBB6_28
; %bb.27:
	flat_load_b64 v[20:21], v[8:9] offset:560
	global_wb scope:SCOPE_SYS
	s_wait_storecnt 0x0
	s_wait_xcnt 0x0
	s_wait_loadcnt_dscnt 0x0
	flat_store_b64 v[20:21], v[96:97] scope:SCOPE_SYS
.LBB6_28:
	s_wait_xcnt 0x0
	s_or_b32 exec_lo, exec_lo, s1
	v_add_nc_u64_e32 v[16:17], 0x1f8, v[8:9]
	v_mov_b64_e32 v[6:7], 0
	v_and_b32_e32 v14, 4, v30
	s_mov_b32 s1, exec_lo
                                        ; implicit-def: $vgpr22
                                        ; implicit-def: $vgpr24_vgpr25
                                        ; implicit-def: $vgpr28_vgpr29
	s_delay_alu instid0(VALU_DEP_1)
	v_cmpx_ne_u32_e32 0, v14
	s_cbranch_execz .LBB6_32
; %bb.29:
	v_and_b32_e32 v6, 0x800, v30
	s_mov_b32 s2, exec_lo
	s_delay_alu instid0(VALU_DEP_1)
	v_cmpx_eq_u32_e32 0, v6
	s_cbranch_execz .LBB6_31
; %bb.30:
	s_trap 2
	ds_store_b64 v0, v[16:17]
.LBB6_31:
	s_or_b32 exec_lo, exec_lo, s2
	flat_load_b64 v[20:21], v[8:9] offset:552
	s_wait_loadcnt_dscnt 0x0
	flat_load_b64 v[28:29], v[20:21] scope:SCOPE_SYS
	s_clause 0x2
	flat_load_b32 v14, v[8:9] offset:576
	flat_load_b64 v[6:7], v[8:9] offset:600
	flat_load_b64 v[24:25], v[8:9] offset:520
	s_wait_xcnt 0x0
	v_or_b32_e32 v8, 0x100, v30
	s_wait_loadcnt_dscnt 0x202
	v_ashrrev_i32_e32 v22, 2, v14
	s_wait_loadcnt_dscnt 0x101
	v_cmp_eq_u64_e32 vcc_lo, 0, v[6:7]
	v_cndmask_b32_e32 v30, v8, v30, vcc_lo
.LBB6_32:
	s_or_b32 exec_lo, exec_lo, s1
.LBB6_33:
	s_delay_alu instid0(SALU_CYCLE_1) | instskip(NEXT) | instid1(VALU_DEP_1)
	s_or_b32 exec_lo, exec_lo, s0
	v_and_b32_e32 v8, 24, v30
	s_mov_b32 s0, exec_lo
                                        ; implicit-def: $vgpr26_vgpr27
	s_delay_alu instid0(VALU_DEP_1)
	v_cmpx_ne_u32_e32 0, v8
	s_cbranch_execz .LBB6_41
; %bb.34:
	s_trap 2
	ds_load_b64 v[6:7], v0
	v_and_b32_e32 v8, 0xffff, v36
	v_or_b32_e32 v14, 0x100, v30
	s_mov_b32 s1, exec_lo
                                        ; implicit-def: $vgpr26_vgpr27
	s_wait_dscnt 0x0
	v_readfirstlane_b32 s2, v6
	v_readfirstlane_b32 s3, v7
	flat_load_b64 v[6:7], v33, s[2:3] scale_offset
	s_wait_loadcnt_dscnt 0x0
	v_mad_nc_u64_u32 v[16:17], 0xa8, v8, v[6:7]
	flat_load_b128 v[6:9], v[16:17] offset:96
	s_wait_loadcnt_dscnt 0x0
	v_cmp_eq_u64_e32 vcc_lo, 0, v[6:7]
	v_cndmask_b32_e32 v30, v14, v30, vcc_lo
	s_delay_alu instid0(VALU_DEP_1) | instskip(SKIP_1) | instid1(VALU_DEP_1)
	v_and_b32_e32 v14, 16, v30
	s_wait_xcnt 0x0
	v_cmpx_ne_u32_e32 0, v14
	s_cbranch_execz .LBB6_36
; %bb.35:
	s_clause 0x2
	flat_load_b64 v[20:21], v[16:17] offset:48
	flat_load_b64 v[26:27], v[16:17] offset:120
	;; [unrolled: 1-line block ×3, first 2 shown]
.LBB6_36:
	s_wait_xcnt 0x0
	s_or_b32 exec_lo, exec_lo, s1
	v_add_nc_u64_e32 v[96:97], 3, v[8:9]
	v_and_b32_e32 v8, 8, v30
	s_mov_b32 s1, exec_lo
	s_delay_alu instid0(VALU_DEP_2) | instskip(NEXT) | instid1(VALU_DEP_2)
	v_and_b32_e32 v96, -4, v96
	v_cmpx_ne_u32_e32 0, v8
	s_cbranch_execz .LBB6_40
; %bb.37:
	v_and_b32_e32 v8, 0x800, v30
	s_mov_b32 s2, exec_lo
	s_delay_alu instid0(VALU_DEP_1)
	v_cmpx_eq_u32_e32 0, v8
	s_cbranch_execz .LBB6_39
; %bb.38:
	s_trap 2
	ds_store_b64 v0, v[16:17]
.LBB6_39:
	s_or_b32 exec_lo, exec_lo, s2
	s_wait_loadcnt_dscnt 0x202
	flat_load_b64 v[20:21], v[16:17] offset:56
	s_wait_loadcnt_dscnt 0x0
	flat_load_b64 v[28:29], v[20:21] scope:SCOPE_SYS
	s_clause 0x1
	flat_load_b32 v8, v[16:17] offset:72
	flat_load_b64 v[24:25], v[16:17] offset:16
	s_wait_loadcnt_dscnt 0x101
	v_ashrrev_i32_e32 v22, 2, v8
.LBB6_40:
	s_wait_xcnt 0x0
	s_or_b32 exec_lo, exec_lo, s1
.LBB6_41:
	s_delay_alu instid0(SALU_CYCLE_1)
	s_or_b32 exec_lo, exec_lo, s0
	v_cmp_eq_u32_e64 s0, 0, v0
	s_and_saveexec_b32 s1, s0
	s_cbranch_execz .LBB6_43
; %bb.42:
	flat_load_b64 v[8:9], v[2:3] offset:32
	ds_store_2addr_b64 v0, v[12:13], v[10:11] offset1:1
	s_trap 2
	s_wait_loadcnt_dscnt 0x1
	ds_store_b64 v0, v[8:9]
	ds_store_b64 v0, v[34:35]
.LBB6_43:
	s_wait_xcnt 0x0
	s_or_b32 exec_lo, exec_lo, s1
	v_mov_b64_e32 v[12:13], 0
	s_wait_loadcnt 0x0
	v_and_b32_e32 v58, 0xffff, v23
	s_mov_b32 s43, exec_lo
	v_cmpx_lt_i64_e32 0, v[4:5]
	s_cbranch_execz .LBB6_1224
; %bb.44:
	flat_load_b32 v8, v[2:3] offset:4
	s_wait_xcnt 0x0
	v_and_b32_e32 v2, 0xfffff80, v32
	v_dual_mov_b32 v3, 0 :: v_dual_bitop2_b32 v9, 31, v31 bitop3:0x40
	v_dual_ashrrev_i32 v23, 31, v22 :: v_dual_lshrrev_b32 v32, 5, v1
	v_dual_ashrrev_i32 v10, 31, v0 :: v_dual_lshlrev_b32 v11, 2, v1
	s_ashr_i32 s7, s6, 31
	s_wait_dscnt 0x1
	v_mov_b32_e32 v33, v3
	s_lshr_b32 s7, s7, 29
	v_dual_mov_b32 v49, v3 :: v_dual_lshlrev_b32 v50, 9, v32
	s_add_co_i32 s7, s6, s7
	v_cmp_eq_u32_e64 s6, 0, v9
	v_lshrrev_b32_e32 v9, 27, v10
	s_ashr_i32 s17, s16, 31
	v_and_b32_e32 v54, 0x7f80, v11
	v_mul_u64_e32 v[14:15], s[16:17], v[2:3]
	v_mov_b64_e32 v[86:87], v[2:3]
	v_add_nc_u32_e32 v66, 0xfffffe00, v50
	v_add_nc_u32_e32 v2, v0, v9
	;; [unrolled: 1-line block ×3, first 2 shown]
	s_add_co_i32 s44, s16, s16
	s_not_b32 s10, s16
	v_ashrrev_i32_e32 v67, 31, v66
	s_delay_alu instid0(VALU_DEP_2) | instskip(SKIP_3) | instid1(VALU_DEP_2)
	v_dual_ashrrev_i32 v62, 5, v2 :: v_dual_ashrrev_i32 v69, 31, v68
	v_and_b32_e32 v2, 0xffffffe0, v2
	s_ashr_i32 s11, s7, 5
	s_cmp_gt_i32 s16, 0
	v_lshlrev_b32_e32 v9, 11, v62
	s_cselect_b32 s10, s10, -1
	v_sub_nc_u32_e32 v63, v0, v2
	v_lshlrev_b32_e32 v2, 12, v62
	s_ashr_i32 s7, s7, 31
	s_add_co_i32 s24, s10, s44
	s_lshr_b32 s7, s7, 28
	s_ashr_i32 s25, s24, 31
	s_add_co_i32 s11, s11, s7
	v_cmp_ge_i32_e32 vcc_lo, v0, v1
	s_ashr_i32 s45, s11, 4
	s_cmp_gt_i32 s16, 2
	v_mov_b64_e32 v[34:35], 0
	s_cselect_b32 s46, -1, 0
	s_add_co_i32 s13, s16, 1
	v_cmp_eq_u64_e64 s4, 0, v[26:27]
	v_cmp_ne_u64_e64 s5, 0, v[26:27]
	v_mov_b64_e32 v[124:125], 0
	v_mov_b64_e32 v[12:13], 0
	v_add_nc_u64_e32 v[70:71], 0x200, v[66:67]
	v_add_nc_u64_e32 v[82:83], 0x80, v[68:69]
	v_cmp_eq_u32_e64 s1, 32, v1
	v_cmp_ne_u32_e64 s2, 32, v1
	v_cmp_ne_u32_e64 s3, v1, v58
	v_dual_mov_b32 v59, 1 :: v_dual_mov_b32 v60, 0x90
	v_dual_mov_b32 v61, 0x88 :: v_dual_lshlrev_b32 v48, 12, v32
	v_dual_mov_b32 v51, v3 :: v_dual_lshlrev_b32 v52, 10, v32
	v_dual_mov_b32 v53, v3 :: v_dual_mov_b32 v55, v3
	v_dual_mov_b32 v65, v3 :: v_dual_lshlrev_b32 v64, 11, v32
	s_mov_b32 s19, 0
	s_mov_b64 s[20:21], 0xffffffff
	s_add_nc_u64 s[22:23], s[16:17], -1
	s_mov_b32 s59, 0
	scratch_store_b64 off, v[16:17], s33 offset:192 ; 8-byte Folded Spill
	s_trap 2
	s_wait_loadcnt_dscnt 0x0
	v_and_b32_e32 v8, 1, v8
	v_lshl_add_u32 v80, v63, 4, v2
	v_cmp_gt_i32_e64 s7, 1, v63
	v_cmp_lt_i32_e64 s11, v63, v81
	v_cmp_le_i32_e64 s12, v63, v81
	v_cmp_eq_u32_e64 s10, 1, v8
	v_dual_sub_nc_u32 v84, v80, v9 :: v_dual_ashrrev_i32 v81, 31, v80
	s_xor_b32 s47, s10, -1
	s_cmp_ge_i32 s13, s16
	s_delay_alu instid0(VALU_DEP_1)
	v_ashrrev_i32_e32 v85, 31, v84
	s_cselect_b32 s14, s16, 0
	s_add_co_i32 s56, s16, -2
	s_sub_co_i32 s28, s13, s14
	s_xor_b32 s57, vcc_lo, -1
	s_ashr_i32 s26, s17, 31
	s_sub_co_i32 s58, 0, s16
	s_ashr_i32 s29, s28, 31
	s_branch .LBB6_47
.LBB6_45:                               ;   in Loop: Header=BB6_47 Depth=1
	s_or_b32 exec_lo, exec_lo, s15
.LBB6_46:                               ;   in Loop: Header=BB6_47 Depth=1
	s_delay_alu instid0(SALU_CYCLE_1) | instskip(SKIP_1) | instid1(VALU_DEP_1)
	s_or_b32 exec_lo, exec_lo, s14
	v_add_nc_u64_e32 v[124:125], v[124:125], v[14:15]
	v_cmp_ge_i64_e32 vcc_lo, v[124:125], v[4:5]
	s_or_b32 s59, vcc_lo, s59
	s_delay_alu instid0(SALU_CYCLE_1)
	s_and_not1_b32 exec_lo, exec_lo, s59
	s_cbranch_execz .LBB6_1223
.LBB6_47:                               ; =>This Loop Header: Depth=1
                                        ;     Child Loop BB6_57 Depth 2
                                        ;       Child Loop BB6_65 Depth 3
                                        ;       Child Loop BB6_89 Depth 3
	;; [unrolled: 1-line block ×9, first 2 shown]
                                        ;     Child Loop BB6_201 Depth 2
                                        ;       Child Loop BB6_207 Depth 3
                                        ;       Child Loop BB6_231 Depth 3
	;; [unrolled: 1-line block ×3, first 2 shown]
                                        ;     Child Loop BB6_275 Depth 2
                                        ;       Child Loop BB6_278 Depth 3
                                        ;         Child Loop BB6_286 Depth 4
                                        ;         Child Loop BB6_314 Depth 4
                                        ;         Child Loop BB6_333 Depth 4
                                        ;         Child Loop BB6_359 Depth 4
                                        ;         Child Loop BB6_364 Depth 4
                                        ;         Child Loop BB6_372 Depth 4
                                        ;         Child Loop BB6_377 Depth 4
                                        ;         Child Loop BB6_386 Depth 4
                                        ;         Child Loop BB6_405 Depth 4
                                        ;       Child Loop BB6_424 Depth 3
                                        ;         Child Loop BB6_430 Depth 4
                                        ;         Child Loop BB6_458 Depth 4
                                        ;         Child Loop BB6_477 Depth 4
                                        ;     Child Loop BB6_499 Depth 2
                                        ;       Child Loop BB6_507 Depth 3
                                        ;       Child Loop BB6_535 Depth 3
	;; [unrolled: 1-line block ×5, first 2 shown]
                                        ;         Child Loop BB6_587 Depth 4
                                        ;       Child Loop BB6_596 Depth 3
                                        ;       Child Loop BB6_601 Depth 3
                                        ;         Child Loop BB6_602 Depth 4
                                        ;       Child Loop BB6_614 Depth 3
                                        ;       Child Loop BB6_619 Depth 3
	;; [unrolled: 1-line block ×6, first 2 shown]
                                        ;     Child Loop BB6_680 Depth 2
                                        ;       Child Loop BB6_686 Depth 3
                                        ;       Child Loop BB6_714 Depth 3
	;; [unrolled: 1-line block ×3, first 2 shown]
                                        ;     Child Loop BB6_755 Depth 2
                                        ;       Child Loop BB6_758 Depth 3
                                        ;         Child Loop BB6_766 Depth 4
                                        ;         Child Loop BB6_794 Depth 4
	;; [unrolled: 1-line block ×5, first 2 shown]
                                        ;           Child Loop BB6_846 Depth 5
                                        ;         Child Loop BB6_855 Depth 4
                                        ;         Child Loop BB6_860 Depth 4
                                        ;           Child Loop BB6_861 Depth 5
                                        ;         Child Loop BB6_873 Depth 4
                                        ;         Child Loop BB6_878 Depth 4
	;; [unrolled: 1-line block ×6, first 2 shown]
                                        ;       Child Loop BB6_939 Depth 3
                                        ;         Child Loop BB6_945 Depth 4
                                        ;         Child Loop BB6_973 Depth 4
	;; [unrolled: 1-line block ×3, first 2 shown]
                                        ;     Child Loop BB6_1017 Depth 2
                                        ;       Child Loop BB6_1025 Depth 3
                                        ;       Child Loop BB6_1049 Depth 3
	;; [unrolled: 1-line block ×9, first 2 shown]
                                        ;     Child Loop BB6_1157 Depth 2
                                        ;       Child Loop BB6_1163 Depth 3
                                        ;       Child Loop BB6_1187 Depth 3
	;; [unrolled: 1-line block ×3, first 2 shown]
	v_sub_nc_u64_e32 v[98:99], v[4:5], v[124:125]
	s_mov_b32 s40, exec_lo
	s_wait_xcnt 0x0
	s_delay_alu instid0(VALU_DEP_1)
	v_cmpx_lt_i64_e64 v[98:99], v[14:15]
	s_cbranch_execz .LBB6_53
; %bb.48:                               ;   in Loop: Header=BB6_47 Depth=1
	v_add_nc_u64_e32 v[8:9], s[22:23], v[98:99]
	s_delay_alu instid0(VALU_DEP_1) | instskip(NEXT) | instid1(VALU_DEP_1)
	v_dual_mov_b32 v10, v3 :: v_dual_bitop2_b32 v11, s17, v9 bitop3:0x54
	v_cmp_ne_u64_e32 vcc_lo, 0, v[10:11]
                                        ; implicit-def: $vgpr10_vgpr11
	s_and_saveexec_b32 s13, vcc_lo
	s_delay_alu instid0(SALU_CYCLE_1)
	s_xor_b32 s41, exec_lo, s13
	s_cbranch_execz .LBB6_50
; %bb.49:                               ;   in Loop: Header=BB6_47 Depth=1
	s_mov_b32 s27, s26
	v_dual_mov_b32 v19, v3 :: v_dual_ashrrev_i32 v10, 31, v9
	s_add_nc_u64 s[14:15], s[16:17], s[26:27]
	v_mov_b32_e32 v39, v3
	s_xor_b64 s[14:15], s[14:15], s[26:27]
	s_delay_alu instid0(VALU_DEP_2) | instskip(SKIP_3) | instid1(VALU_DEP_1)
	v_mov_b32_e32 v11, v10
	s_cvt_f32_u32 s13, s14
	s_cvt_f32_u32 s18, s15
	s_sub_nc_u64 s[62:63], 0, s[14:15]
	v_add_nc_u64_e32 v[8:9], v[8:9], v[10:11]
	s_delay_alu instid0(SALU_CYCLE_1) | instskip(NEXT) | instid1(SALU_CYCLE_3)
	s_fmamk_f32 s13, s18, 0x4f800000, s13
	v_s_rcp_f32 s13, s13
	s_delay_alu instid0(VALU_DEP_1) | instskip(NEXT) | instid1(VALU_DEP_2)
	v_xor_b32_e32 v2, v8, v10
	v_xor_b32_e32 v18, v9, v10
	;; [unrolled: 1-line block ×3, first 2 shown]
	s_delay_alu instid0(TRANS32_DEP_1) | instskip(NEXT) | instid1(SALU_CYCLE_3)
	s_mul_f32 s13, s13, 0x5f7ffffc
	s_mul_f32 s18, s13, 0x2f800000
	s_delay_alu instid0(SALU_CYCLE_3) | instskip(NEXT) | instid1(SALU_CYCLE_3)
	s_trunc_f32 s18, s18
	s_fmamk_f32 s13, s18, 0xcf800000, s13
	s_cvt_u32_f32 s61, s18
	s_delay_alu instid0(SALU_CYCLE_2) | instskip(NEXT) | instid1(SALU_CYCLE_3)
	s_cvt_u32_f32 s60, s13
	s_mul_u64 s[72:73], s[62:63], s[60:61]
	s_delay_alu instid0(SALU_CYCLE_1)
	s_mul_hi_u32 s75, s60, s73
	s_mul_i32 s74, s60, s73
	s_mul_hi_u32 s18, s60, s72
	s_mul_i32 s27, s61, s72
	s_add_nc_u64 s[74:75], s[18:19], s[74:75]
	s_mul_hi_u32 s13, s61, s72
	s_mul_hi_u32 s76, s61, s73
	s_add_co_u32 s18, s74, s27
	s_add_co_ci_u32 s18, s75, s13
	s_mul_i32 s72, s61, s73
	s_add_co_ci_u32 s73, s76, 0
	s_delay_alu instid0(SALU_CYCLE_1) | instskip(NEXT) | instid1(SALU_CYCLE_1)
	s_add_nc_u64 s[72:73], s[18:19], s[72:73]
	s_add_co_u32 s60, s60, s72
	s_cselect_b32 s13, -1, 0
	s_delay_alu instid0(SALU_CYCLE_1) | instskip(SKIP_1) | instid1(SALU_CYCLE_1)
	s_cmp_lg_u32 s13, 0
	s_add_co_ci_u32 s61, s61, s73
	s_mul_u64 s[62:63], s[62:63], s[60:61]
	s_delay_alu instid0(SALU_CYCLE_1)
	s_mul_hi_u32 s73, s60, s63
	s_mul_i32 s72, s60, s63
	s_mul_hi_u32 s18, s60, s62
	s_mul_i32 s27, s61, s62
	s_add_nc_u64 s[72:73], s[18:19], s[72:73]
	s_mul_hi_u32 s13, s61, s62
	s_mul_hi_u32 s74, s61, s63
	s_add_co_u32 s18, s72, s27
	s_add_co_ci_u32 s18, s73, s13
	s_mul_i32 s62, s61, s63
	s_add_co_ci_u32 s63, s74, 0
	s_delay_alu instid0(SALU_CYCLE_1) | instskip(NEXT) | instid1(SALU_CYCLE_1)
	s_add_nc_u64 s[62:63], s[18:19], s[62:63]
	s_add_co_u32 s60, s60, s62
	s_cselect_b32 s13, -1, 0
	v_mul_hi_u32 v38, v2, s60
	s_cmp_lg_u32 s13, 0
	s_add_co_ci_u32 s18, s61, s63
	s_and_b64 s[62:63], s[60:61], s[20:21]
	v_mul_u64_e32 v[16:17], s[18:19], v[2:3]
	v_mul_u64_e32 v[8:9], s[62:63], v[18:19]
	;; [unrolled: 1-line block ×3, first 2 shown]
	s_delay_alu instid0(VALU_DEP_3) | instskip(NEXT) | instid1(VALU_DEP_1)
	v_add_nc_u64_e32 v[16:17], v[38:39], v[16:17]
	v_add_co_u32 v8, vcc_lo, v16, v8
	s_delay_alu instid0(VALU_DEP_2) | instskip(NEXT) | instid1(VALU_DEP_4)
	v_add_co_ci_u32_e32 v38, vcc_lo, v17, v9, vcc_lo
	v_add_co_ci_u32_e32 v37, vcc_lo, 0, v37, vcc_lo
	s_delay_alu instid0(VALU_DEP_1) | instskip(NEXT) | instid1(VALU_DEP_1)
	v_add_nc_u64_e32 v[8:9], v[38:39], v[36:37]
	v_mul_u64_e32 v[16:17], s[14:15], v[8:9]
	s_delay_alu instid0(VALU_DEP_1) | instskip(NEXT) | instid1(VALU_DEP_2)
	v_sub_nc_u32_e32 v11, v18, v17
	v_sub_co_u32 v2, vcc_lo, v2, v16
	s_delay_alu instid0(VALU_DEP_1) | instskip(NEXT) | instid1(VALU_DEP_3)
	v_sub_co_ci_u32_e64 v36, null, v18, v17, vcc_lo
	v_subrev_co_ci_u32_e64 v11, null, s15, v11, vcc_lo
	s_delay_alu instid0(VALU_DEP_3) | instskip(SKIP_1) | instid1(VALU_DEP_3)
	v_sub_co_u32 v16, s13, v2, s14
	v_add_nc_u64_e32 v[18:19], 1, v[8:9]
	v_subrev_co_ci_u32_e64 v11, null, 0, v11, s13
	s_delay_alu instid0(VALU_DEP_3) | instskip(SKIP_1) | instid1(VALU_DEP_3)
	v_cmp_le_u32_e32 vcc_lo, s14, v16
	v_cndmask_b32_e64 v16, 0, -1, vcc_lo
	v_cmp_le_u32_e32 vcc_lo, s15, v11
	v_cndmask_b32_e64 v17, 0, -1, vcc_lo
	;; [unrolled: 2-line block ×4, first 2 shown]
	v_cmp_eq_u32_e32 vcc_lo, s15, v11
	v_cndmask_b32_e32 v11, v17, v16, vcc_lo
	v_cmp_eq_u32_e32 vcc_lo, s15, v36
	v_add_nc_u64_e32 v[16:17], 2, v[8:9]
	v_cndmask_b32_e32 v2, v37, v2, vcc_lo
	s_delay_alu instid0(VALU_DEP_4) | instskip(NEXT) | instid1(VALU_DEP_2)
	v_cmp_ne_u32_e32 vcc_lo, 0, v11
	v_cmp_ne_u32_e64 s13, 0, v2
	s_delay_alu instid0(VALU_DEP_4) | instskip(NEXT) | instid1(VALU_DEP_1)
	v_dual_cndmask_b32 v11, v19, v17 :: v_dual_cndmask_b32 v2, v18, v16
	v_dual_cndmask_b32 v9, v9, v11, s13 :: v_dual_cndmask_b32 v2, v8, v2, s13
	s_delay_alu instid0(VALU_DEP_1) | instskip(NEXT) | instid1(VALU_DEP_2)
	v_dual_mov_b32 v11, v10 :: v_dual_bitop2_b32 v9, v9, v10 bitop3:0x14
	v_xor_b32_e32 v8, v2, v10
	s_delay_alu instid0(VALU_DEP_1)
	v_sub_nc_u64_e32 v[10:11], v[8:9], v[10:11]
                                        ; implicit-def: $vgpr8_vgpr9
.LBB6_50:                               ;   in Loop: Header=BB6_47 Depth=1
	s_and_not1_saveexec_b32 s13, s41
	s_cbranch_execz .LBB6_52
; %bb.51:                               ;   in Loop: Header=BB6_47 Depth=1
	v_cvt_f32_u32_e32 v2, s16
	s_delay_alu instid0(VALU_DEP_1) | instskip(SKIP_1) | instid1(TRANS32_DEP_1)
	v_rcp_iflag_f32_e32 v2, v2
	v_nop
	v_mul_f32_e32 v2, 0x4f7ffffe, v2
	s_delay_alu instid0(VALU_DEP_1) | instskip(NEXT) | instid1(VALU_DEP_1)
	v_cvt_u32_f32_e32 v2, v2
	v_mul_lo_u32 v9, s58, v2
	s_delay_alu instid0(VALU_DEP_1) | instskip(NEXT) | instid1(VALU_DEP_1)
	v_mul_hi_u32 v9, v2, v9
	v_add_nc_u32_e32 v2, v2, v9
	s_delay_alu instid0(VALU_DEP_1) | instskip(NEXT) | instid1(VALU_DEP_1)
	v_mul_hi_u32 v2, v8, v2
	v_mul_lo_u32 v9, v2, s16
	s_delay_alu instid0(VALU_DEP_1) | instskip(NEXT) | instid1(VALU_DEP_1)
	v_dual_sub_nc_u32 v8, v8, v9 :: v_dual_add_nc_u32 v9, 1, v2
	v_subrev_nc_u32_e32 v10, s16, v8
	v_cmp_le_u32_e32 vcc_lo, s16, v8
	s_delay_alu instid0(VALU_DEP_2) | instskip(NEXT) | instid1(VALU_DEP_1)
	v_dual_cndmask_b32 v8, v8, v10, vcc_lo :: v_dual_cndmask_b32 v2, v2, v9, vcc_lo
	v_cmp_le_u32_e32 vcc_lo, s16, v8
	s_delay_alu instid0(VALU_DEP_2) | instskip(NEXT) | instid1(VALU_DEP_1)
	v_add_nc_u32_e32 v9, 1, v2
	v_cndmask_b32_e32 v2, v2, v9, vcc_lo
	s_delay_alu instid0(VALU_DEP_1)
	v_mov_b64_e32 v[10:11], v[2:3]
.LBB6_52:                               ;   in Loop: Header=BB6_47 Depth=1
	s_or_b32 exec_lo, exec_lo, s13
	s_delay_alu instid0(VALU_DEP_1) | instskip(NEXT) | instid1(VALU_DEP_1)
	v_add_nc_u64_e32 v[86:87], 3, v[10:11]
	v_and_b32_e32 v86, -4, v86
.LBB6_53:                               ;   in Loop: Header=BB6_47 Depth=1
	s_or_b32 exec_lo, exec_lo, s40
	scratch_load_b64 v[10:11], off, s33 offset:184 ; 8-byte Folded Reload
	v_mul_u64_e32 v[102:103], s[24:25], v[86:87]
	s_delay_alu instid0(VALU_DEP_1) | instskip(NEXT) | instid1(VALU_DEP_1)
	v_sub_nc_u64_e32 v[8:9], v[98:99], v[102:103]
	v_min_i64 v[8:9], v[86:87], v[8:9]
	s_delay_alu instid0(VALU_DEP_1) | instskip(SKIP_1) | instid1(VALU_DEP_2)
	v_max_i32_e32 v42, 0, v8
	v_cmp_lt_i32_e32 vcc_lo, 0, v8
	v_add_nc_u32_e32 v2, 31, v42
	s_and_b32 s13, s57, vcc_lo
	s_delay_alu instid0(VALU_DEP_1) | instskip(NEXT) | instid1(VALU_DEP_1)
	v_lshrrev_b32_e32 v2, 1, v2
	v_and_b32_e32 v9, 0x3ffffff0, v2
	s_delay_alu instid0(VALU_DEP_1)
	v_dual_mov_b32 v2, 0 :: v_dual_max_i32 v8, s45, v9
	s_wait_loadcnt 0x0
	v_add_nc_u64_e32 v[100:101], v[124:125], v[10:11]
	v_mov_b32_e32 v10, 0
	s_wait_xcnt 0x0
	s_and_saveexec_b32 s14, s13
	s_cbranch_execz .LBB6_197
; %bb.54:                               ;   in Loop: Header=BB6_47 Depth=1
	v_mov_b32_e32 v10, 0
	s_mov_b32 s27, 1
	s_mov_b32 s18, -1
	s_mov_b32 s15, 0
	s_branch .LBB6_57
.LBB6_55:                               ;   in Loop: Header=BB6_57 Depth=2
	s_wait_xcnt 0x0
	s_or_b32 exec_lo, exec_lo, s40
	v_add_nc_u64_e32 v[96:97], 2, v[96:97]
	global_wb scope:SCOPE_SYS
	s_wait_storecnt 0x0
	s_wait_loadcnt_dscnt 0x0
	flat_store_b64 v[20:21], v[96:97] scope:SCOPE_SYS
.LBB6_56:                               ;   in Loop: Header=BB6_57 Depth=2
	s_wait_xcnt 0x0
	s_or_b32 exec_lo, exec_lo, s13
	v_dual_add_nc_u32 v10, v8, v10 :: v_dual_mov_b32 v2, s27
	s_xor_b32 s13, s18, -1
	s_mov_b32 s18, 0
	s_mov_b32 s27, 2
	s_delay_alu instid0(VALU_DEP_1) | instskip(SKIP_1) | instid1(SALU_CYCLE_1)
	v_cmp_ge_i32_e32 vcc_lo, v10, v42
	s_or_b32 s13, s13, vcc_lo
	s_and_b32 s13, exec_lo, s13
	s_delay_alu instid0(SALU_CYCLE_1) | instskip(NEXT) | instid1(SALU_CYCLE_1)
	s_or_b32 s15, s13, s15
	s_and_not1_b32 exec_lo, exec_lo, s15
	s_cbranch_execz .LBB6_196
.LBB6_57:                               ;   Parent Loop BB6_47 Depth=1
                                        ; =>  This Loop Header: Depth=2
                                        ;       Child Loop BB6_65 Depth 3
                                        ;       Child Loop BB6_89 Depth 3
	;; [unrolled: 1-line block ×9, first 2 shown]
	s_and_saveexec_b32 s13, s0
	s_cbranch_execz .LBB6_59
; %bb.58:                               ;   in Loop: Header=BB6_57 Depth=2
	s_trap 2
	ds_load_b64 v[16:17], v0
	v_ashrrev_i32_e32 v11, 31, v10
	s_wait_dscnt 0x0
	v_lshl_add_u64 v[16:17], v[100:101], 2, v[16:17]
	s_delay_alu instid0(VALU_DEP_1) | instskip(NEXT) | instid1(VALU_DEP_1)
	v_lshl_add_u64 v[16:17], v[102:103], 2, v[16:17]
	v_lshl_add_u64 v[16:17], v[10:11], 2, v[16:17]
	ds_store_b64 v0, v[16:17]
	ds_store_b64 v0, v[34:35]
.LBB6_59:                               ;   in Loop: Header=BB6_57 Depth=2
	s_or_b32 exec_lo, exec_lo, s13
	v_sub_nc_u32_e32 v2, v42, v10
	v_and_b32_e32 v9, 8, v30
	s_mov_b32 s40, exec_lo
	s_delay_alu instid0(VALU_DEP_2) | instskip(NEXT) | instid1(VALU_DEP_2)
	v_min_i32_e32 v8, v8, v2
	v_cmpx_ne_u32_e32 0, v9
	s_cbranch_execz .LBB6_81
; %bb.60:                               ;   in Loop: Header=BB6_57 Depth=2
	s_wait_loadcnt_dscnt 0x1
	v_add_nc_u64_e32 v[16:17], 8, v[28:29]
	v_add_nc_u64_e32 v[112:113], 2, v[96:97]
	s_mov_b32 s41, exec_lo
	s_delay_alu instid0(VALU_DEP_1)
	v_cmpx_lt_u64_e64 v[16:17], v[112:113]
	s_cbranch_execz .LBB6_72
; %bb.61:                               ;   in Loop: Header=BB6_57 Depth=2
	v_and_b32_e32 v2, 64, v30
	s_mov_b32 s60, 0
	s_mov_b32 s72, 0
                                        ; implicit-def: $sgpr61
                                        ; implicit-def: $sgpr62
                                        ; implicit-def: $sgpr63
	s_delay_alu instid0(VALU_DEP_1)
	v_cmp_eq_u32_e32 vcc_lo, 0, v2
	s_branch .LBB6_65
.LBB6_62:                               ;   in Loop: Header=BB6_65 Depth=3
	s_wait_loadcnt_dscnt 0x0
	v_add_nc_u64_e32 v[16:17], 8, v[28:29]
	s_or_b32 s75, s75, exec_lo
	s_delay_alu instid0(VALU_DEP_1)
	v_cmp_ge_u64_e64 s13, v[16:17], v[112:113]
	s_or_not1_b32 s74, s13, exec_lo
.LBB6_63:                               ;   in Loop: Header=BB6_65 Depth=3
	s_or_b32 exec_lo, exec_lo, s77
	s_delay_alu instid0(SALU_CYCLE_1)
	s_and_not1_b32 s13, s63, exec_lo
	s_and_b32 s63, s75, exec_lo
	s_and_not1_b32 s62, s62, exec_lo
	s_and_b32 s74, s74, exec_lo
	s_or_b32 s63, s13, s63
	s_or_b32 s62, s62, s74
.LBB6_64:                               ;   in Loop: Header=BB6_65 Depth=3
	s_or_b32 exec_lo, exec_lo, s73
	s_delay_alu instid0(SALU_CYCLE_1) | instskip(NEXT) | instid1(SALU_CYCLE_1)
	s_and_b32 s13, exec_lo, s62
	s_or_b32 s60, s13, s60
	s_and_not1_b32 s13, s61, exec_lo
	s_and_b32 s61, s63, exec_lo
	s_delay_alu instid0(SALU_CYCLE_1)
	s_or_b32 s61, s13, s61
	s_and_not1_b32 exec_lo, exec_lo, s60
	s_cbranch_execz .LBB6_69
.LBB6_65:                               ;   Parent Loop BB6_47 Depth=1
                                        ;     Parent Loop BB6_57 Depth=2
                                        ; =>    This Inner Loop Header: Depth=3
	s_sleep 1
	s_wait_loadcnt_dscnt 0x0
	flat_load_b64 v[28:29], v[20:21] scope:SCOPE_SYS
	s_or_b32 s63, s63, exec_lo
	s_or_b32 s62, s62, exec_lo
                                        ; implicit-def: $vgpr2
	s_wait_xcnt 0x0
	s_and_saveexec_b32 s73, vcc_lo
	s_cbranch_execz .LBB6_64
; %bb.66:                               ;   in Loop: Header=BB6_65 Depth=3
	s_cmp_lt_i32 s72, 0x270f
	s_mov_b32 s74, -1
	s_cselect_b32 s76, -1, 0
	s_cmp_gt_i32 s72, 0x270e
	s_cbranch_scc0 .LBB6_68
; %bb.67:                               ;   in Loop: Header=BB6_65 Depth=3
	s_trap 2
	ds_load_b64 v[16:17], v0
	s_and_not1_b32 s72, s76, exec_lo
	s_mov_b32 s75, 0
	s_wait_storecnt 0x0
	s_wait_loadcnt_dscnt 0x0
	flat_load_b32 v2, v[16:17] scope:SCOPE_SYS
	s_wait_loadcnt_dscnt 0x0
	global_inv scope:SCOPE_SYS
	v_cmp_eq_u32_e64 s13, 0, v2
	s_and_b32 s13, s13, exec_lo
	s_delay_alu instid0(SALU_CYCLE_1)
	s_or_b32 s76, s72, s13
	s_mov_b32 s72, 0
	s_and_saveexec_b32 s77, s76
	s_cbranch_execz .LBB6_63
	s_branch .LBB6_62
.LBB6_68:                               ;   in Loop: Header=BB6_65 Depth=3
	s_add_co_i32 s72, s72, 1
	s_mov_b32 s75, -1
                                        ; implicit-def: $vgpr2
	s_and_saveexec_b32 s77, s76
	s_cbranch_execz .LBB6_63
	s_branch .LBB6_62
.LBB6_69:                               ;   in Loop: Header=BB6_57 Depth=2
	s_or_b32 exec_lo, exec_lo, s60
	s_xor_b32 s13, s61, -1
	s_delay_alu instid0(SALU_CYCLE_1) | instskip(NEXT) | instid1(SALU_CYCLE_1)
	s_and_saveexec_b32 s60, s13
	s_xor_b32 s13, exec_lo, s60
	s_cbranch_execz .LBB6_71
; %bb.70:                               ;   in Loop: Header=BB6_57 Depth=2
	v_or_b32_e32 v30, 64, v30
	s_wait_storecnt 0x0
	s_wait_loadcnt_dscnt 0x0
	ds_store_b32 v0, v2
	s_trap 2
.LBB6_71:                               ;   in Loop: Header=BB6_57 Depth=2
	s_or_b32 exec_lo, exec_lo, s13
.LBB6_72:                               ;   in Loop: Header=BB6_57 Depth=2
	s_delay_alu instid0(SALU_CYCLE_1) | instskip(SKIP_4) | instid1(VALU_DEP_1)
	s_or_b32 exec_lo, exec_lo, s41
	v_and_b32_e32 v2, 0x100, v30
	s_mov_b32 s41, 0
	s_mov_b32 s13, exec_lo
	;;#ASMSTART
	s_wakeup
	;;#ASMEND
                                        ; implicit-def: $vgpr114_vgpr115
	v_cmpx_ne_u32_e32 0, v2
	s_xor_b32 s13, exec_lo, s13
	s_cbranch_execz .LBB6_93
; %bb.73:                               ;   in Loop: Header=BB6_57 Depth=2
	v_and_b32_e32 v2, 7, v96
	v_ashrrev_i32_e32 v9, 31, v8
	s_mov_b32 s41, -1
	s_mov_b32 s60, exec_lo
                                        ; implicit-def: $vgpr114_vgpr115
	s_delay_alu instid0(VALU_DEP_2) | instskip(NEXT) | instid1(VALU_DEP_2)
	v_mad_nc_u64_u32 v[96:97], v2, 24, v[6:7]
	v_lshlrev_b64_e32 v[16:17], 2, v[8:9]
	s_clause 0x1
	flat_load_b32 v11, v[96:97]
	flat_store_b64 v[96:97], v[16:17] offset:8
	s_wait_loadcnt_dscnt 0x1
	v_cmpx_eq_u32_e32 1, v11
	s_cbranch_execz .LBB6_75
; %bb.74:                               ;   in Loop: Header=BB6_57 Depth=2
	flat_load_b32 v16, v[96:97] offset:4 scope:SCOPE_SYS
	s_xor_b32 s41, exec_lo, -1
	s_wait_loadcnt_dscnt 0x0
	v_ashrrev_i32_e32 v17, 31, v16
	s_delay_alu instid0(VALU_DEP_1)
	v_lshrrev_b64 v[114:115], 2, v[16:17]
.LBB6_75:                               ;   in Loop: Header=BB6_57 Depth=2
	s_wait_xcnt 0x0
	s_or_b32 exec_lo, exec_lo, s60
	s_delay_alu instid0(SALU_CYCLE_1)
	s_and_b32 s41, s41, exec_lo
                                        ; implicit-def: $vgpr96_vgpr97
	s_and_not1_saveexec_b32 s13, s13
	s_cbranch_execnz .LBB6_94
.LBB6_76:                               ;   in Loop: Header=BB6_57 Depth=2
	s_or_b32 exec_lo, exec_lo, s13
	s_and_saveexec_b32 s13, s41
.LBB6_77:                               ;   in Loop: Header=BB6_57 Depth=2
	v_mul_u64_e32 v[114:115], v[2:3], v[22:23]
.LBB6_78:                               ;   in Loop: Header=BB6_57 Depth=2
	s_or_b32 exec_lo, exec_lo, s13
	v_and_b32_e32 v2, 0x2000, v30
	s_delay_alu instid0(VALU_DEP_2)
	v_lshl_add_u64 v[16:17], v[114:115], 2, v[24:25]
	s_mov_b32 s13, exec_lo
	ds_store_b64 v0, v[16:17] offset:784
	v_cmpx_ne_u32_e32 0, v2
	s_cbranch_execz .LBB6_80
; %bb.79:                               ;   in Loop: Header=BB6_57 Depth=2
	ds_load_b64 v[16:17], v0 offset:872
	s_wait_dscnt 0x0
	v_add_nc_u64_e32 v[16:17], 1, v[16:17]
	ds_store_b64 v0, v[16:17] offset:872
.LBB6_80:                               ;   in Loop: Header=BB6_57 Depth=2
	s_or_b32 exec_lo, exec_lo, s13
	v_mov_b64_e32 v[96:97], v[112:113]
.LBB6_81:                               ;   in Loop: Header=BB6_57 Depth=2
	s_or_b32 exec_lo, exec_lo, s40
	s_and_saveexec_b32 s13, s2
	s_cbranch_execz .LBB6_102
; %bb.82:                               ;   in Loop: Header=BB6_57 Depth=2
	s_and_saveexec_b32 s40, s3
	s_delay_alu instid0(SALU_CYCLE_1)
	s_xor_b32 s40, exec_lo, s40
	s_cbranch_execz .LBB6_99
; %bb.83:                               ;   in Loop: Header=BB6_57 Depth=2
	s_and_saveexec_b32 s41, s6
	s_cbranch_execz .LBB6_98
; %bb.84:                               ;   in Loop: Header=BB6_57 Depth=2
	s_mov_b32 s61, exec_lo
	s_mov_b32 s60, exec_lo
	v_mbcnt_lo_u32_b32 v2, s61, 0
	global_wb scope:SCOPE_DEV
	s_wait_storecnt 0x0
	s_wait_loadcnt_dscnt 0x0
	global_inv scope:SCOPE_DEV
	v_cmpx_eq_u32_e32 0, v2
	s_cbranch_execz .LBB6_86
; %bb.85:                               ;   in Loop: Header=BB6_57 Depth=2
	s_bcnt1_i32_b32 s61, s61
	s_delay_alu instid0(SALU_CYCLE_1)
	v_mov_b32_e32 v2, s61
	s_wait_loadcnt 0x0
	ds_add_u64 v0, v[2:3]
	s_trap 2
.LBB6_86:                               ;   in Loop: Header=BB6_57 Depth=2
	s_or_b32 exec_lo, exec_lo, s60
	s_trap 2
	ds_load_b64 v[16:17], v0
	s_wait_dscnt 0x0
	v_add_nc_u64_e32 v[12:13], v[12:13], v[32:33]
	s_mov_b32 s60, exec_lo
	s_delay_alu instid0(VALU_DEP_1)
	v_cmpx_lt_u64_e64 v[16:17], v[12:13]
	s_cbranch_execz .LBB6_97
; %bb.87:                               ;   in Loop: Header=BB6_57 Depth=2
	s_mov_b32 s61, 0
	s_mov_b32 s72, 0
                                        ; implicit-def: $sgpr62
                                        ; implicit-def: $sgpr63
	s_branch .LBB6_89
.LBB6_88:                               ;   in Loop: Header=BB6_89 Depth=3
	s_or_b32 exec_lo, exec_lo, s74
	s_delay_alu instid0(SALU_CYCLE_1) | instskip(NEXT) | instid1(SALU_CYCLE_1)
	s_and_b32 s73, exec_lo, s75
	s_or_b32 s61, s73, s61
	s_and_not1_b32 s62, s62, exec_lo
	s_and_b32 s73, s63, exec_lo
	s_delay_alu instid0(SALU_CYCLE_1)
	s_or_b32 s62, s62, s73
	s_and_not1_b32 exec_lo, exec_lo, s61
	s_cbranch_execz .LBB6_95
.LBB6_89:                               ;   Parent Loop BB6_47 Depth=1
                                        ;     Parent Loop BB6_57 Depth=2
                                        ; =>    This Inner Loop Header: Depth=3
	s_add_co_i32 s72, s72, 1
	s_delay_alu instid0(SALU_CYCLE_1) | instskip(SKIP_1) | instid1(SALU_CYCLE_1)
	s_cmp_lg_u32 s72, 0x2710
	s_cselect_b32 s73, -1, 0
	s_and_b32 vcc_lo, exec_lo, s73
	s_cbranch_vccz .LBB6_91
; %bb.90:                               ;   in Loop: Header=BB6_89 Depth=3
	s_mov_b32 s75, -1
	s_or_b32 s63, s63, exec_lo
	s_and_saveexec_b32 s74, s73
	s_cbranch_execz .LBB6_88
	s_branch .LBB6_92
.LBB6_91:                               ;   in Loop: Header=BB6_89 Depth=3
	s_trap 2
	ds_load_b64 v[16:17], v0
	s_and_not1_b32 s73, s73, exec_lo
	s_mov_b32 s72, 0
	s_wait_loadcnt_dscnt 0x0
	flat_load_b32 v2, v[16:17] scope:SCOPE_SYS
	s_wait_loadcnt_dscnt 0x0
	global_inv scope:SCOPE_SYS
	v_cmp_eq_u32_e32 vcc_lo, 0, v2
	s_and_b32 s74, vcc_lo, exec_lo
	s_delay_alu instid0(SALU_CYCLE_1)
	s_or_b32 s73, s73, s74
	s_mov_b32 s75, -1
	s_or_b32 s63, s63, exec_lo
	s_and_saveexec_b32 s74, s73
	s_cbranch_execz .LBB6_88
.LBB6_92:                               ;   in Loop: Header=BB6_89 Depth=3
	s_sleep 1
	s_trap 2
	ds_load_b64 v[16:17], v0
	s_wait_dscnt 0x0
	s_and_not1_b32 s63, s63, exec_lo
	v_cmp_ge_u64_e32 vcc_lo, v[16:17], v[12:13]
	s_or_not1_b32 s75, vcc_lo, exec_lo
	s_branch .LBB6_88
.LBB6_93:                               ;   in Loop: Header=BB6_57 Depth=2
	s_and_not1_saveexec_b32 s13, s13
	s_cbranch_execz .LBB6_76
.LBB6_94:                               ;   in Loop: Header=BB6_57 Depth=2
	v_and_b32_e32 v2, 7, v96
	s_or_b32 s41, s41, exec_lo
	s_or_b32 exec_lo, exec_lo, s13
	s_and_saveexec_b32 s13, s41
	s_cbranch_execnz .LBB6_77
	s_branch .LBB6_78
.LBB6_95:                               ;   in Loop: Header=BB6_57 Depth=2
	s_or_b32 exec_lo, exec_lo, s61
	s_and_saveexec_b32 s61, s62
	s_delay_alu instid0(SALU_CYCLE_1)
	s_xor_b32 s61, exec_lo, s61
	s_cbranch_execz .LBB6_97
; %bb.96:                               ;   in Loop: Header=BB6_57 Depth=2
	ds_store_b32 v0, v59
	s_trap 2
.LBB6_97:                               ;   in Loop: Header=BB6_57 Depth=2
	s_or_b32 exec_lo, exec_lo, s60
	;;#ASMSTART
	s_wakeup
	;;#ASMEND
.LBB6_98:                               ;   in Loop: Header=BB6_57 Depth=2
	s_or_b32 exec_lo, exec_lo, s41
.LBB6_99:                               ;   in Loop: Header=BB6_57 Depth=2
	s_and_not1_saveexec_b32 s40, s40
	s_cbranch_execz .LBB6_101
; %bb.100:                              ;   in Loop: Header=BB6_57 Depth=2
	global_wb scope:SCOPE_DEV
	s_wait_storecnt 0x0
	s_wait_loadcnt_dscnt 0x0
	global_inv scope:SCOPE_DEV
	s_barrier_signal -1
	s_barrier_wait -1
.LBB6_101:                              ;   in Loop: Header=BB6_57 Depth=2
	s_or_b32 exec_lo, exec_lo, s40
.LBB6_102:                              ;   in Loop: Header=BB6_57 Depth=2
	s_delay_alu instid0(SALU_CYCLE_1) | instskip(SKIP_4) | instid1(VALU_DEP_1)
	s_or_b32 exec_lo, exec_lo, s13
	s_trap 2
	ds_load_b32 v9, v0
	v_and_b32_e32 v2, 0x4000, v30
	s_xor_b32 s13, s1, -1
	v_cmp_ne_u32_e32 vcc_lo, 0, v2
	s_and_b32 s40, s13, vcc_lo
	s_delay_alu instid0(SALU_CYCLE_1)
	s_and_saveexec_b32 s13, s40
	s_cbranch_execz .LBB6_121
; %bb.103:                              ;   in Loop: Header=BB6_57 Depth=2
	s_and_saveexec_b32 s40, s3
	s_delay_alu instid0(SALU_CYCLE_1)
	s_xor_b32 s40, exec_lo, s40
	s_cbranch_execz .LBB6_118
; %bb.104:                              ;   in Loop: Header=BB6_57 Depth=2
	s_and_saveexec_b32 s41, s6
	s_cbranch_execz .LBB6_117
; %bb.105:                              ;   in Loop: Header=BB6_57 Depth=2
	s_mov_b32 s61, exec_lo
	s_mov_b32 s60, exec_lo
	v_mbcnt_lo_u32_b32 v2, s61, 0
	global_wb scope:SCOPE_DEV
	s_wait_storecnt 0x0
	s_wait_loadcnt_dscnt 0x0
	global_inv scope:SCOPE_DEV
	v_cmpx_eq_u32_e32 0, v2
	s_cbranch_execz .LBB6_107
; %bb.106:                              ;   in Loop: Header=BB6_57 Depth=2
	s_bcnt1_i32_b32 s61, s61
	s_delay_alu instid0(SALU_CYCLE_1)
	v_mov_b32_e32 v2, s61
	s_wait_loadcnt 0x0
	ds_add_u64 v0, v[2:3]
	s_trap 2
.LBB6_107:                              ;   in Loop: Header=BB6_57 Depth=2
	s_or_b32 exec_lo, exec_lo, s60
	s_trap 2
	ds_load_b64 v[16:17], v0
	s_wait_dscnt 0x0
	v_add_nc_u64_e32 v[12:13], v[12:13], v[32:33]
	s_mov_b32 s60, exec_lo
	s_delay_alu instid0(VALU_DEP_1)
	v_cmpx_lt_u64_e64 v[16:17], v[12:13]
	s_cbranch_execz .LBB6_116
; %bb.108:                              ;   in Loop: Header=BB6_57 Depth=2
	s_mov_b32 s61, 0
	s_mov_b32 s72, 0
                                        ; implicit-def: $sgpr62
                                        ; implicit-def: $sgpr63
	s_branch .LBB6_110
.LBB6_109:                              ;   in Loop: Header=BB6_110 Depth=3
	s_or_b32 exec_lo, exec_lo, s74
	s_delay_alu instid0(SALU_CYCLE_1) | instskip(NEXT) | instid1(SALU_CYCLE_1)
	s_and_b32 s73, exec_lo, s75
	s_or_b32 s61, s73, s61
	s_and_not1_b32 s62, s62, exec_lo
	s_and_b32 s73, s63, exec_lo
	s_delay_alu instid0(SALU_CYCLE_1)
	s_or_b32 s62, s62, s73
	s_and_not1_b32 exec_lo, exec_lo, s61
	s_cbranch_execz .LBB6_114
.LBB6_110:                              ;   Parent Loop BB6_47 Depth=1
                                        ;     Parent Loop BB6_57 Depth=2
                                        ; =>    This Inner Loop Header: Depth=3
	s_add_co_i32 s72, s72, 1
	s_delay_alu instid0(SALU_CYCLE_1) | instskip(SKIP_1) | instid1(SALU_CYCLE_1)
	s_cmp_lg_u32 s72, 0x2710
	s_cselect_b32 s73, -1, 0
	s_and_b32 vcc_lo, exec_lo, s73
	s_cbranch_vccz .LBB6_112
; %bb.111:                              ;   in Loop: Header=BB6_110 Depth=3
	s_mov_b32 s75, -1
	s_or_b32 s63, s63, exec_lo
	s_and_saveexec_b32 s74, s73
	s_cbranch_execz .LBB6_109
	s_branch .LBB6_113
.LBB6_112:                              ;   in Loop: Header=BB6_110 Depth=3
	s_trap 2
	ds_load_b64 v[16:17], v0
	s_and_not1_b32 s73, s73, exec_lo
	s_mov_b32 s72, 0
	s_wait_loadcnt_dscnt 0x0
	flat_load_b32 v2, v[16:17] scope:SCOPE_SYS
	s_wait_loadcnt_dscnt 0x0
	global_inv scope:SCOPE_SYS
	v_cmp_eq_u32_e32 vcc_lo, 0, v2
	s_and_b32 s74, vcc_lo, exec_lo
	s_delay_alu instid0(SALU_CYCLE_1)
	s_or_b32 s73, s73, s74
	s_mov_b32 s75, -1
	s_or_b32 s63, s63, exec_lo
	s_and_saveexec_b32 s74, s73
	s_cbranch_execz .LBB6_109
.LBB6_113:                              ;   in Loop: Header=BB6_110 Depth=3
	s_sleep 1
	s_trap 2
	ds_load_b64 v[16:17], v0
	s_wait_dscnt 0x0
	s_and_not1_b32 s63, s63, exec_lo
	v_cmp_ge_u64_e32 vcc_lo, v[16:17], v[12:13]
	s_or_not1_b32 s75, vcc_lo, exec_lo
	s_branch .LBB6_109
.LBB6_114:                              ;   in Loop: Header=BB6_57 Depth=2
	s_or_b32 exec_lo, exec_lo, s61
	s_and_saveexec_b32 s61, s62
	s_delay_alu instid0(SALU_CYCLE_1)
	s_xor_b32 s61, exec_lo, s61
	s_cbranch_execz .LBB6_116
; %bb.115:                              ;   in Loop: Header=BB6_57 Depth=2
	ds_store_b32 v0, v59
	s_trap 2
.LBB6_116:                              ;   in Loop: Header=BB6_57 Depth=2
	s_or_b32 exec_lo, exec_lo, s60
	;;#ASMSTART
	s_wakeup
	;;#ASMEND
.LBB6_117:                              ;   in Loop: Header=BB6_57 Depth=2
	s_or_b32 exec_lo, exec_lo, s41
.LBB6_118:                              ;   in Loop: Header=BB6_57 Depth=2
	s_and_not1_saveexec_b32 s40, s40
	s_cbranch_execz .LBB6_120
; %bb.119:                              ;   in Loop: Header=BB6_57 Depth=2
	global_wb scope:SCOPE_DEV
	s_wait_storecnt 0x0
	s_wait_loadcnt_dscnt 0x0
	global_inv scope:SCOPE_DEV
	s_barrier_signal -1
	s_barrier_wait -1
.LBB6_120:                              ;   in Loop: Header=BB6_57 Depth=2
	s_or_b32 exec_lo, exec_lo, s40
.LBB6_121:                              ;   in Loop: Header=BB6_57 Depth=2
	s_delay_alu instid0(SALU_CYCLE_1)
	s_or_b32 exec_lo, exec_lo, s13
	s_trap 2
	ds_load_b64 v[112:113], v0
	s_wait_dscnt 0x0
	v_cmp_eq_u64_e32 vcc_lo, 0, v[112:113]
	s_cbranch_vccnz .LBB6_129
; %bb.122:                              ;   in Loop: Header=BB6_57 Depth=2
	s_trap 2
	ds_load_b64 v[114:115], v0
	s_wait_dscnt 0x0
	v_cmp_eq_u64_e32 vcc_lo, 0, v[114:115]
	s_cbranch_vccnz .LBB6_129
; %bb.123:                              ;   in Loop: Header=BB6_57 Depth=2
	s_mov_b32 s13, -1
	s_and_saveexec_b32 s40, s7
	s_cbranch_execz .LBB6_125
; %bb.124:                              ;   in Loop: Header=BB6_57 Depth=2
	ds_load_b32 v2, v0 offset:720
	s_wait_dscnt 0x0
	v_and_b32_e32 v2, 15, v2
	s_delay_alu instid0(VALU_DEP_1)
	v_cmp_eq_u32_e32 vcc_lo, 0, v2
	s_or_not1_b32 s13, vcc_lo, exec_lo
.LBB6_125:                              ;   in Loop: Header=BB6_57 Depth=2
	s_or_b32 exec_lo, exec_lo, s40
	s_and_saveexec_b32 s40, s11
	s_cbranch_execz .LBB6_127
; %bb.126:                              ;   in Loop: Header=BB6_57 Depth=2
	ds_load_b32 v2, v0 offset:784
	s_wait_dscnt 0x0
	v_and_b32_e32 v2, 15, v2
	s_delay_alu instid0(VALU_DEP_1) | instskip(SKIP_3) | instid1(SALU_CYCLE_1)
	v_cmp_eq_u32_e32 vcc_lo, 0, v2
	s_and_b32 s41, s13, vcc_lo
	s_and_not1_b32 s13, s13, exec_lo
	s_and_b32 s41, s41, exec_lo
	s_or_b32 s13, s13, s41
.LBB6_127:                              ;   in Loop: Header=BB6_57 Depth=2
	s_or_b32 exec_lo, exec_lo, s40
	v_cmp_eq_u32_e32 vcc_lo, 0, v9
	s_xor_b32 s13, s13, -1
	s_mov_b32 s41, -1
	v_cndmask_b32_e64 v11, 0, 1, s13
	v_cndmask_b32_e32 v2, 0, v8, vcc_lo
	s_delay_alu instid0(VALU_DEP_2) | instskip(NEXT) | instid1(VALU_DEP_2)
	v_cmp_ne_u32_e32 vcc_lo, 0, v11
	v_dual_mov_b32 v11, 0 :: v_dual_lshlrev_b32 v9, 2, v2
	s_cbranch_vccz .LBB6_134
; %bb.128:                              ;   in Loop: Header=BB6_57 Depth=2
	v_dual_mov_b32 v43, v0 :: v_dual_mov_b32 v116, v62
	s_and_saveexec_b32 s13, s41
	s_cbranch_execnz .LBB6_147
	s_branch .LBB6_155
.LBB6_129:                              ;   in Loop: Header=BB6_57 Depth=2
	s_mov_b32 s13, 0
	s_and_saveexec_b32 s40, s2
	s_cbranch_execnz .LBB6_156
.LBB6_130:                              ;   in Loop: Header=BB6_57 Depth=2
	s_or_b32 exec_lo, exec_lo, s40
                                        ; implicit-def: $vgpr2
	s_and_saveexec_b32 s40, s10
	s_delay_alu instid0(SALU_CYCLE_1)
	s_xor_b32 s40, exec_lo, s40
	s_cbranch_execz .LBB6_174
.LBB6_131:                              ;   in Loop: Header=BB6_57 Depth=2
	v_and_b32_e32 v2, 16, v30
	s_delay_alu instid0(VALU_DEP_1) | instskip(SKIP_2) | instid1(SALU_CYCLE_1)
	v_cmp_ne_u32_e32 vcc_lo, 0, v2
	v_and_b32_e32 v2, 16, v30
	s_and_b32 s41, vcc_lo, s13
	s_and_saveexec_b32 s13, s41
	s_cbranch_execz .LBB6_133
; %bb.132:                              ;   in Loop: Header=BB6_57 Depth=2
	v_mov_b32_e32 v2, 1
	global_wb scope:SCOPE_SYS
	s_wait_storecnt 0x0
	s_wait_loadcnt_dscnt 0x0
	global_inv scope:SCOPE_SYS
.LBB6_133:                              ;   in Loop: Header=BB6_57 Depth=2
	s_or_b32 exec_lo, exec_lo, s13
	s_and_not1_saveexec_b32 s13, s40
	s_cbranch_execz .LBB6_193
	s_branch .LBB6_175
.LBB6_134:                              ;   in Loop: Header=BB6_57 Depth=2
	s_delay_alu instid0(VALU_DEP_1) | instskip(SKIP_1) | instid1(VALU_DEP_1)
	v_ashrrev_i32_e32 v11, 31, v9
	s_mov_b32 s13, exec_lo
	v_lshrrev_b32_e32 v11, 20, v11
	s_delay_alu instid0(VALU_DEP_1) | instskip(NEXT) | instid1(VALU_DEP_1)
	v_add_nc_u32_e32 v11, v9, v11
	v_ashrrev_i32_e32 v11, 12, v11
	s_delay_alu instid0(VALU_DEP_1) | instskip(NEXT) | instid1(VALU_DEP_1)
	v_sub_nc_u32_e32 v40, v11, v62
	v_cmpx_lt_i32_e32 0, v40
	s_cbranch_execz .LBB6_138
; %bb.135:                              ;   in Loop: Header=BB6_57 Depth=2
	v_mov_b64_e32 v[116:117], v[114:115]
	v_mov_b64_e32 v[118:119], v[112:113]
	s_mov_b32 s40, 0
.LBB6_136:                              ;   Parent Loop BB6_47 Depth=1
                                        ;     Parent Loop BB6_57 Depth=2
                                        ; =>    This Inner Loop Header: Depth=3
	s_delay_alu instid0(VALU_DEP_1)
	v_add_nc_u64_e32 v[16:17], v[80:81], v[118:119]
	v_sub_nc_u32_e32 v40, v40, v32
	v_add_nc_u64_e32 v[118:119], v[118:119], v[48:49]
	s_clause 0x7
	global_load_b128 v[44:47], v[16:17], off th:TH_LOAD_NT
	global_load_b128 v[72:75], v[16:17], off offset:512 th:TH_LOAD_NT
	global_load_b128 v[76:79], v[16:17], off offset:1024 th:TH_LOAD_NT
	;; [unrolled: 1-line block ×7, first 2 shown]
	s_wait_xcnt 0x0
	v_add_nc_u64_e32 v[16:17], v[80:81], v[116:117]
	v_add_nc_u64_e32 v[116:117], v[116:117], v[48:49]
	v_cmp_gt_i32_e32 vcc_lo, 1, v40
	s_wait_loadcnt 0x7
	global_store_b128 v[16:17], v[44:47], off th:TH_STORE_NT
	s_wait_loadcnt 0x6
	global_store_b128 v[16:17], v[72:75], off offset:512 th:TH_STORE_NT
	s_wait_loadcnt 0x5
	global_store_b128 v[16:17], v[76:79], off offset:1024 th:TH_STORE_NT
	;; [unrolled: 2-line block ×7, first 2 shown]
	s_or_b32 s40, vcc_lo, s40
	s_wait_xcnt 0x0
	s_and_not1_b32 exec_lo, exec_lo, s40
	s_cbranch_execnz .LBB6_136
; %bb.137:                              ;   in Loop: Header=BB6_57 Depth=2
	s_or_b32 exec_lo, exec_lo, s40
.LBB6_138:                              ;   in Loop: Header=BB6_57 Depth=2
	s_delay_alu instid0(SALU_CYCLE_1) | instskip(SKIP_3) | instid1(VALU_DEP_1)
	s_or_b32 exec_lo, exec_lo, s13
	v_dual_mov_b32 v11, 0 :: v_dual_lshlrev_b32 v118, 12, v11
	s_mov_b32 s41, 0
	s_mov_b32 s40, exec_lo
                                        ; implicit-def: $vgpr43
                                        ; implicit-def: $vgpr116
	v_cmpx_ne_u32_e64 v9, v118
	s_cbranch_execz .LBB6_146
; %bb.139:                              ;   in Loop: Header=BB6_57 Depth=2
	v_dual_lshlrev_b32 v11, 5, v40 :: v_dual_sub_nc_u32 v17, v9, v118
	s_mov_b32 s41, exec_lo
	s_delay_alu instid0(VALU_DEP_1) | instskip(NEXT) | instid1(VALU_DEP_1)
	v_dual_sub_nc_u32 v11, v63, v11 :: v_dual_ashrrev_i32 v18, 31, v17
	v_dual_ashrrev_i32 v16, 31, v11 :: v_dual_lshrrev_b32 v18, 23, v18
	s_delay_alu instid0(VALU_DEP_1) | instskip(NEXT) | instid1(VALU_DEP_1)
	v_lshrrev_b32_e32 v16, 27, v16
	v_add_nc_u32_e32 v16, v11, v16
	s_delay_alu instid0(VALU_DEP_1) | instskip(NEXT) | instid1(VALU_DEP_1)
	v_and_b32_e32 v19, 0xffffffe0, v16
	v_dual_add_nc_u32 v18, v17, v18 :: v_dual_sub_nc_u32 v40, v11, v19
	s_delay_alu instid0(VALU_DEP_1) | instskip(SKIP_1) | instid1(VALU_DEP_2)
	v_and_b32_e32 v119, 0xfffffe00, v18
	v_dual_ashrrev_i32 v16, 5, v16 :: v_dual_ashrrev_i32 v18, 9, v18
	v_dual_lshlrev_b32 v11, 4, v40 :: v_dual_sub_nc_u32 v41, v17, v119
	s_delay_alu instid0(VALU_DEP_1) | instskip(NEXT) | instid1(VALU_DEP_2)
	v_lshl_add_u32 v116, v16, 9, v11
	v_cmp_lt_i32_e32 vcc_lo, 15, v41
	s_delay_alu instid0(VALU_DEP_2) | instskip(SKIP_1) | instid1(VALU_DEP_1)
	v_sub_nc_u32_e32 v11, v17, v116
	v_add_co_ci_u32_e64 v18, null, 0, v18, vcc_lo
	v_sub_nc_u32_e32 v44, v18, v16
	s_delay_alu instid0(VALU_DEP_3)
	v_cmpx_lt_i32_e32 15, v11
	s_cbranch_execz .LBB6_143
; %bb.140:                              ;   in Loop: Header=BB6_57 Depth=2
	v_add_nc_u32_e32 v116, v116, v118
	s_mov_b32 s60, 0
	s_delay_alu instid0(VALU_DEP_1)
	v_ashrrev_i32_e32 v117, 31, v116
.LBB6_141:                              ;   Parent Loop BB6_47 Depth=1
                                        ;     Parent Loop BB6_57 Depth=2
                                        ; =>    This Inner Loop Header: Depth=3
	s_delay_alu instid0(VALU_DEP_1) | instskip(SKIP_1) | instid1(VALU_DEP_1)
	v_add_nc_u64_e32 v[16:17], v[112:113], v[116:117]
	v_dual_sub_nc_u32 v11, v11, v50 :: v_dual_sub_nc_u32 v44, v44, v32
	v_cmp_gt_i32_e64 s13, 16, v11
	global_load_b128 v[72:75], v[16:17], off th:TH_LOAD_NT
	s_wait_xcnt 0x0
	v_add_nc_u64_e32 v[16:17], v[114:115], v[116:117]
	v_add_nc_u64_e32 v[116:117], v[116:117], v[50:51]
	s_or_b32 s60, s13, s60
	s_wait_loadcnt 0x0
	global_store_b128 v[16:17], v[72:75], off th:TH_STORE_NT
	s_wait_xcnt 0x0
	s_and_not1_b32 exec_lo, exec_lo, s60
	s_cbranch_execnz .LBB6_141
; %bb.142:                              ;   in Loop: Header=BB6_57 Depth=2
	s_or_b32 exec_lo, exec_lo, s60
.LBB6_143:                              ;   in Loop: Header=BB6_57 Depth=2
	s_delay_alu instid0(SALU_CYCLE_1) | instskip(SKIP_3) | instid1(VALU_DEP_1)
	s_or_b32 exec_lo, exec_lo, s41
	v_dual_mov_b32 v11, 0 :: v_dual_bitop2_b32 v117, 12, v9 bitop3:0x40
	s_mov_b32 s41, 0
	s_mov_b32 s60, exec_lo
                                        ; implicit-def: $vgpr43
                                        ; implicit-def: $vgpr116
	v_cndmask_b32_e32 v9, v41, v117, vcc_lo
	s_delay_alu instid0(VALU_DEP_1)
	v_cmpx_ne_u32_e32 0, v9
	s_cbranch_execz .LBB6_145
; %bb.144:                              ;   in Loop: Header=BB6_57 Depth=2
	v_cmp_lt_i32_e64 s13, 0, v44
	s_mov_b32 s41, exec_lo
	v_dual_sub_nc_u32 v16, v41, v117 :: v_dual_cndmask_b32 v11, 0, v32, s13
	s_delay_alu instid0(VALU_DEP_1) | instskip(NEXT) | instid1(VALU_DEP_2)
	v_cndmask_b32_e32 v16, 0, v16, vcc_lo
	v_sub_nc_u32_e32 v11, v11, v44
	s_delay_alu instid0(VALU_DEP_1) | instskip(NEXT) | instid1(VALU_DEP_1)
	v_lshl_add_u32 v43, v11, 5, v40
	v_ashrrev_i32_e32 v11, 31, v43
	s_delay_alu instid0(VALU_DEP_1) | instskip(NEXT) | instid1(VALU_DEP_1)
	v_lshrrev_b32_e32 v11, 27, v11
	v_add_nc_u32_e32 v17, v43, v11
	v_add3_u32 v11, v119, v118, v16
	s_delay_alu instid0(VALU_DEP_2)
	v_ashrrev_i32_e32 v116, 5, v17
.LBB6_145:                              ;   in Loop: Header=BB6_57 Depth=2
	s_or_b32 exec_lo, exec_lo, s60
	s_delay_alu instid0(SALU_CYCLE_1)
	s_and_b32 s41, s41, exec_lo
.LBB6_146:                              ;   in Loop: Header=BB6_57 Depth=2
	s_or_b32 exec_lo, exec_lo, s40
	s_and_saveexec_b32 s13, s41
	s_cbranch_execz .LBB6_155
.LBB6_147:                              ;   in Loop: Header=BB6_57 Depth=2
	v_ashrrev_i32_e32 v16, 31, v9
	s_mov_b32 s40, exec_lo
	s_delay_alu instid0(VALU_DEP_1) | instskip(NEXT) | instid1(VALU_DEP_1)
	v_lshrrev_b32_e32 v16, 22, v16
	v_add_nc_u32_e32 v16, v9, v16
	s_delay_alu instid0(VALU_DEP_1) | instskip(NEXT) | instid1(VALU_DEP_1)
	v_dual_ashrrev_i32 v46, 10, v16 :: v_dual_ashrrev_i32 v16, 31, v43
	v_sub_nc_u32_e32 v44, v46, v116
	s_delay_alu instid0(VALU_DEP_2) | instskip(NEXT) | instid1(VALU_DEP_2)
	v_lshrrev_b32_e32 v45, 27, v16
	v_cmpx_lt_i32_e32 0, v44
	s_cbranch_execz .LBB6_151
; %bb.148:                              ;   in Loop: Header=BB6_57 Depth=2
	s_delay_alu instid0(VALU_DEP_2) | instskip(SKIP_3) | instid1(VALU_DEP_3)
	v_dual_add_nc_u32 v16, v43, v45 :: v_dual_lshlrev_b32 v17, 10, v116
	v_mov_b64_e32 v[118:119], v[114:115]
	v_mov_b64_e32 v[40:41], v[112:113]
	s_mov_b32 s41, 0
	v_and_b32_e32 v16, 0x3fffffe0, v16
	s_delay_alu instid0(VALU_DEP_1) | instskip(NEXT) | instid1(VALU_DEP_1)
	v_sub_nc_u32_e32 v16, v43, v16
	v_lshlrev_b32_e32 v16, 2, v16
	s_delay_alu instid0(VALU_DEP_1) | instskip(NEXT) | instid1(VALU_DEP_1)
	v_add3_u32 v116, v16, v11, v17
	v_ashrrev_i32_e32 v117, 31, v116
.LBB6_149:                              ;   Parent Loop BB6_47 Depth=1
                                        ;     Parent Loop BB6_57 Depth=2
                                        ; =>    This Inner Loop Header: Depth=3
	s_delay_alu instid0(VALU_DEP_1)
	v_add_nc_u64_e32 v[16:17], v[116:117], v[40:41]
	v_sub_nc_u32_e32 v44, v44, v32
	v_add_nc_u64_e32 v[40:41], v[40:41], v[52:53]
	s_clause 0x7
	flat_load_b32 v18, v[16:17] th:TH_LOAD_NT
	flat_load_b32 v19, v[16:17] offset:128 th:TH_LOAD_NT
	flat_load_b32 v36, v[16:17] offset:256 th:TH_LOAD_NT
	;; [unrolled: 1-line block ×7, first 2 shown]
	s_wait_xcnt 0x0
	v_add_nc_u64_e32 v[16:17], v[116:117], v[118:119]
	v_add_nc_u64_e32 v[118:119], v[118:119], v[52:53]
	v_cmp_gt_i32_e32 vcc_lo, 1, v44
	s_wait_loadcnt_dscnt 0x707
	flat_store_b32 v[16:17], v18 th:TH_STORE_NT
	s_wait_loadcnt_dscnt 0x607
	flat_store_b32 v[16:17], v19 offset:128 th:TH_STORE_NT
	s_wait_loadcnt_dscnt 0x507
	flat_store_b32 v[16:17], v36 offset:256 th:TH_STORE_NT
	;; [unrolled: 2-line block ×7, first 2 shown]
	s_or_b32 s41, vcc_lo, s41
	s_wait_xcnt 0x0
	s_and_not1_b32 exec_lo, exec_lo, s41
	s_cbranch_execnz .LBB6_149
; %bb.150:                              ;   in Loop: Header=BB6_57 Depth=2
	s_or_b32 exec_lo, exec_lo, s41
.LBB6_151:                              ;   in Loop: Header=BB6_57 Depth=2
	s_delay_alu instid0(SALU_CYCLE_1) | instskip(SKIP_1) | instid1(VALU_DEP_1)
	s_or_b32 exec_lo, exec_lo, s40
	v_lshlrev_b32_e32 v116, 10, v46
	v_cmp_ne_u32_e32 vcc_lo, v9, v116
	s_and_b32 exec_lo, exec_lo, vcc_lo
	s_cbranch_execz .LBB6_155
; %bb.152:                              ;   in Loop: Header=BB6_57 Depth=2
	v_dual_add_nc_u32 v16, v43, v45 :: v_dual_lshlrev_b32 v17, 5, v44
	s_delay_alu instid0(VALU_DEP_1) | instskip(NEXT) | instid1(VALU_DEP_1)
	v_and_b32_e32 v16, 0xffffffe0, v16
	v_sub_nc_u32_e32 v16, v43, v16
	s_delay_alu instid0(VALU_DEP_1) | instskip(NEXT) | instid1(VALU_DEP_1)
	v_sub_nc_u32_e32 v16, v16, v17
	v_ashrrev_i32_e32 v17, 31, v16
	s_delay_alu instid0(VALU_DEP_1) | instskip(NEXT) | instid1(VALU_DEP_1)
	v_lshrrev_b32_e32 v17, 27, v17
	v_add_nc_u32_e32 v17, v16, v17
	s_delay_alu instid0(VALU_DEP_1) | instskip(NEXT) | instid1(VALU_DEP_1)
	v_and_b32_e32 v18, 0x3fffffe0, v17
	v_dual_lshlrev_b32 v17, 2, v17 :: v_dual_sub_nc_u32 v16, v16, v18
	s_delay_alu instid0(VALU_DEP_1) | instskip(NEXT) | instid1(VALU_DEP_2)
	v_and_b32_e32 v17, 0xffffff80, v17
	v_lshlrev_b32_e32 v16, 2, v16
	s_delay_alu instid0(VALU_DEP_1) | instskip(NEXT) | instid1(VALU_DEP_1)
	v_add3_u32 v116, v17, v16, v116
	v_sub_nc_u32_e32 v9, v9, v116
	s_delay_alu instid0(VALU_DEP_1)
	v_cmp_lt_i32_e32 vcc_lo, 3, v9
	s_and_b32 exec_lo, exec_lo, vcc_lo
	s_cbranch_execz .LBB6_155
; %bb.153:                              ;   in Loop: Header=BB6_57 Depth=2
	v_add_nc_u32_e32 v116, v116, v11
	s_mov_b32 s40, 0
	s_delay_alu instid0(VALU_DEP_1)
	v_ashrrev_i32_e32 v117, 31, v116
.LBB6_154:                              ;   Parent Loop BB6_47 Depth=1
                                        ;     Parent Loop BB6_57 Depth=2
                                        ; =>    This Inner Loop Header: Depth=3
	s_delay_alu instid0(VALU_DEP_1) | instskip(SKIP_1) | instid1(VALU_DEP_1)
	v_add_nc_u64_e32 v[16:17], v[112:113], v[116:117]
	v_sub_nc_u32_e32 v9, v9, v54
	v_cmp_gt_i32_e32 vcc_lo, 4, v9
	flat_load_b32 v11, v[16:17] th:TH_LOAD_NT
	s_wait_xcnt 0x0
	v_add_nc_u64_e32 v[16:17], v[114:115], v[116:117]
	v_add_nc_u64_e32 v[116:117], v[116:117], v[54:55]
	s_or_b32 s40, vcc_lo, s40
	s_wait_loadcnt_dscnt 0x0
	flat_store_b32 v[16:17], v11 th:TH_STORE_NT
	s_wait_xcnt 0x0
	s_and_not1_b32 exec_lo, exec_lo, s40
	s_cbranch_execnz .LBB6_154
.LBB6_155:                              ;   in Loop: Header=BB6_57 Depth=2
	s_or_b32 exec_lo, exec_lo, s13
	v_cmp_lt_i32_e64 s13, 0, v2
	s_and_saveexec_b32 s40, s2
	s_cbranch_execz .LBB6_130
.LBB6_156:                              ;   in Loop: Header=BB6_57 Depth=2
	s_and_saveexec_b32 s41, s3
	s_delay_alu instid0(SALU_CYCLE_1)
	s_xor_b32 s41, exec_lo, s41
	s_cbranch_execz .LBB6_171
; %bb.157:                              ;   in Loop: Header=BB6_57 Depth=2
	s_and_saveexec_b32 s60, s6
	s_cbranch_execz .LBB6_170
; %bb.158:                              ;   in Loop: Header=BB6_57 Depth=2
	s_mov_b32 s62, exec_lo
	s_mov_b32 s61, exec_lo
	v_mbcnt_lo_u32_b32 v2, s62, 0
	global_wb scope:SCOPE_DEV
	s_wait_storecnt 0x0
	s_wait_loadcnt_dscnt 0x0
	global_inv scope:SCOPE_DEV
	v_cmpx_eq_u32_e32 0, v2
	s_cbranch_execz .LBB6_160
; %bb.159:                              ;   in Loop: Header=BB6_57 Depth=2
	s_bcnt1_i32_b32 s62, s62
	s_delay_alu instid0(SALU_CYCLE_1)
	v_mov_b32_e32 v2, s62
	s_wait_loadcnt 0x0
	ds_add_u64 v0, v[2:3]
	s_trap 2
.LBB6_160:                              ;   in Loop: Header=BB6_57 Depth=2
	s_or_b32 exec_lo, exec_lo, s61
	s_trap 2
	ds_load_b64 v[16:17], v0
	s_wait_dscnt 0x0
	v_add_nc_u64_e32 v[12:13], v[12:13], v[32:33]
	s_mov_b32 s61, exec_lo
	s_delay_alu instid0(VALU_DEP_1)
	v_cmpx_lt_u64_e64 v[16:17], v[12:13]
	s_cbranch_execz .LBB6_169
; %bb.161:                              ;   in Loop: Header=BB6_57 Depth=2
	s_mov_b32 s62, 0
	s_mov_b32 s73, 0
                                        ; implicit-def: $sgpr63
                                        ; implicit-def: $sgpr72
	s_branch .LBB6_163
.LBB6_162:                              ;   in Loop: Header=BB6_163 Depth=3
	s_or_b32 exec_lo, exec_lo, s75
	s_delay_alu instid0(SALU_CYCLE_1) | instskip(NEXT) | instid1(SALU_CYCLE_1)
	s_and_b32 s74, exec_lo, s76
	s_or_b32 s62, s74, s62
	s_and_not1_b32 s63, s63, exec_lo
	s_and_b32 s74, s72, exec_lo
	s_delay_alu instid0(SALU_CYCLE_1)
	s_or_b32 s63, s63, s74
	s_and_not1_b32 exec_lo, exec_lo, s62
	s_cbranch_execz .LBB6_167
.LBB6_163:                              ;   Parent Loop BB6_47 Depth=1
                                        ;     Parent Loop BB6_57 Depth=2
                                        ; =>    This Inner Loop Header: Depth=3
	s_add_co_i32 s73, s73, 1
	s_delay_alu instid0(SALU_CYCLE_1) | instskip(SKIP_1) | instid1(SALU_CYCLE_1)
	s_cmp_lg_u32 s73, 0x2710
	s_cselect_b32 s74, -1, 0
	s_and_b32 vcc_lo, exec_lo, s74
	s_cbranch_vccz .LBB6_165
; %bb.164:                              ;   in Loop: Header=BB6_163 Depth=3
	s_mov_b32 s76, -1
	s_or_b32 s72, s72, exec_lo
	s_and_saveexec_b32 s75, s74
	s_cbranch_execz .LBB6_162
	s_branch .LBB6_166
.LBB6_165:                              ;   in Loop: Header=BB6_163 Depth=3
	s_trap 2
	ds_load_b64 v[16:17], v0
	s_and_not1_b32 s74, s74, exec_lo
	s_mov_b32 s73, 0
	s_wait_loadcnt_dscnt 0x0
	flat_load_b32 v2, v[16:17] scope:SCOPE_SYS
	s_wait_loadcnt_dscnt 0x0
	global_inv scope:SCOPE_SYS
	v_cmp_eq_u32_e32 vcc_lo, 0, v2
	s_and_b32 s75, vcc_lo, exec_lo
	s_delay_alu instid0(SALU_CYCLE_1)
	s_or_b32 s74, s74, s75
	s_mov_b32 s76, -1
	s_or_b32 s72, s72, exec_lo
	s_and_saveexec_b32 s75, s74
	s_cbranch_execz .LBB6_162
.LBB6_166:                              ;   in Loop: Header=BB6_163 Depth=3
	s_sleep 1
	s_trap 2
	ds_load_b64 v[16:17], v0
	s_wait_dscnt 0x0
	s_and_not1_b32 s72, s72, exec_lo
	v_cmp_ge_u64_e32 vcc_lo, v[16:17], v[12:13]
	s_or_not1_b32 s76, vcc_lo, exec_lo
	s_branch .LBB6_162
.LBB6_167:                              ;   in Loop: Header=BB6_57 Depth=2
	s_or_b32 exec_lo, exec_lo, s62
	s_and_saveexec_b32 s62, s63
	s_delay_alu instid0(SALU_CYCLE_1)
	s_xor_b32 s62, exec_lo, s62
	s_cbranch_execz .LBB6_169
; %bb.168:                              ;   in Loop: Header=BB6_57 Depth=2
	ds_store_b32 v0, v59
	s_trap 2
.LBB6_169:                              ;   in Loop: Header=BB6_57 Depth=2
	s_or_b32 exec_lo, exec_lo, s61
	;;#ASMSTART
	s_wakeup
	;;#ASMEND
.LBB6_170:                              ;   in Loop: Header=BB6_57 Depth=2
	s_or_b32 exec_lo, exec_lo, s60
.LBB6_171:                              ;   in Loop: Header=BB6_57 Depth=2
	s_and_not1_saveexec_b32 s41, s41
	s_cbranch_execz .LBB6_173
; %bb.172:                              ;   in Loop: Header=BB6_57 Depth=2
	global_wb scope:SCOPE_DEV
	s_wait_storecnt 0x0
	s_wait_loadcnt_dscnt 0x0
	global_inv scope:SCOPE_DEV
	s_barrier_signal -1
	s_barrier_wait -1
.LBB6_173:                              ;   in Loop: Header=BB6_57 Depth=2
	s_or_b32 exec_lo, exec_lo, s41
	s_delay_alu instid0(SALU_CYCLE_1) | instskip(SKIP_1) | instid1(SALU_CYCLE_1)
	s_or_b32 exec_lo, exec_lo, s40
                                        ; implicit-def: $vgpr2
	s_and_saveexec_b32 s40, s10
	s_xor_b32 s40, exec_lo, s40
	s_cbranch_execnz .LBB6_131
.LBB6_174:                              ;   in Loop: Header=BB6_57 Depth=2
	s_and_not1_saveexec_b32 s13, s40
	s_cbranch_execz .LBB6_193
.LBB6_175:                              ;   in Loop: Header=BB6_57 Depth=2
	s_and_saveexec_b32 s40, s3
	s_delay_alu instid0(SALU_CYCLE_1)
	s_xor_b32 s40, exec_lo, s40
	s_cbranch_execz .LBB6_190
; %bb.176:                              ;   in Loop: Header=BB6_57 Depth=2
	s_and_saveexec_b32 s41, s6
	s_cbranch_execz .LBB6_189
; %bb.177:                              ;   in Loop: Header=BB6_57 Depth=2
	s_mov_b32 s61, exec_lo
	s_mov_b32 s60, exec_lo
	v_mbcnt_lo_u32_b32 v2, s61, 0
	;;#ASMSTART
	s_waitcnt lgkmcnt(0) vmcnt(0)
	;;#ASMEND
	s_delay_alu instid0(VALU_DEP_1)
	v_cmpx_eq_u32_e32 0, v2
	s_cbranch_execz .LBB6_179
; %bb.178:                              ;   in Loop: Header=BB6_57 Depth=2
	s_bcnt1_i32_b32 s61, s61
	s_delay_alu instid0(SALU_CYCLE_1)
	v_mov_b32_e32 v2, s61
	s_wait_storecnt 0x0
	s_wait_loadcnt_dscnt 0x0
	ds_add_u64 v0, v[2:3]
	s_trap 2
.LBB6_179:                              ;   in Loop: Header=BB6_57 Depth=2
	s_or_b32 exec_lo, exec_lo, s60
	s_trap 2
	ds_load_b64 v[16:17], v0
	s_wait_dscnt 0x0
	v_add_nc_u64_e32 v[12:13], v[12:13], v[32:33]
	s_mov_b32 s60, exec_lo
	s_delay_alu instid0(VALU_DEP_1)
	v_cmpx_lt_u64_e64 v[16:17], v[12:13]
	s_cbranch_execz .LBB6_188
; %bb.180:                              ;   in Loop: Header=BB6_57 Depth=2
	s_mov_b32 s61, 0
	s_mov_b32 s72, 0
                                        ; implicit-def: $sgpr62
                                        ; implicit-def: $sgpr63
	s_branch .LBB6_182
.LBB6_181:                              ;   in Loop: Header=BB6_182 Depth=3
	s_or_b32 exec_lo, exec_lo, s74
	s_delay_alu instid0(SALU_CYCLE_1) | instskip(NEXT) | instid1(SALU_CYCLE_1)
	s_and_b32 s73, exec_lo, s75
	s_or_b32 s61, s73, s61
	s_and_not1_b32 s62, s62, exec_lo
	s_and_b32 s73, s63, exec_lo
	s_delay_alu instid0(SALU_CYCLE_1)
	s_or_b32 s62, s62, s73
	s_and_not1_b32 exec_lo, exec_lo, s61
	s_cbranch_execz .LBB6_186
.LBB6_182:                              ;   Parent Loop BB6_47 Depth=1
                                        ;     Parent Loop BB6_57 Depth=2
                                        ; =>    This Inner Loop Header: Depth=3
	s_add_co_i32 s72, s72, 1
	s_delay_alu instid0(SALU_CYCLE_1) | instskip(SKIP_1) | instid1(SALU_CYCLE_1)
	s_cmp_lg_u32 s72, 0x2710
	s_cselect_b32 s73, -1, 0
	s_and_b32 vcc_lo, exec_lo, s73
	s_cbranch_vccz .LBB6_184
; %bb.183:                              ;   in Loop: Header=BB6_182 Depth=3
	s_mov_b32 s75, -1
	s_or_b32 s63, s63, exec_lo
	s_and_saveexec_b32 s74, s73
	s_cbranch_execz .LBB6_181
	s_branch .LBB6_185
.LBB6_184:                              ;   in Loop: Header=BB6_182 Depth=3
	s_trap 2
	ds_load_b64 v[16:17], v0
	s_and_not1_b32 s73, s73, exec_lo
	s_mov_b32 s72, 0
	s_wait_storecnt 0x0
	s_wait_loadcnt_dscnt 0x0
	flat_load_b32 v2, v[16:17] scope:SCOPE_SYS
	s_wait_loadcnt_dscnt 0x0
	global_inv scope:SCOPE_SYS
	v_cmp_eq_u32_e32 vcc_lo, 0, v2
	s_and_b32 s74, vcc_lo, exec_lo
	s_delay_alu instid0(SALU_CYCLE_1)
	s_or_b32 s73, s73, s74
	s_mov_b32 s75, -1
	s_or_b32 s63, s63, exec_lo
	s_and_saveexec_b32 s74, s73
	s_cbranch_execz .LBB6_181
.LBB6_185:                              ;   in Loop: Header=BB6_182 Depth=3
	s_sleep 1
	s_trap 2
	ds_load_b64 v[16:17], v0
	s_wait_dscnt 0x0
	s_and_not1_b32 s63, s63, exec_lo
	v_cmp_ge_u64_e32 vcc_lo, v[16:17], v[12:13]
	s_or_not1_b32 s75, vcc_lo, exec_lo
	s_branch .LBB6_181
.LBB6_186:                              ;   in Loop: Header=BB6_57 Depth=2
	s_or_b32 exec_lo, exec_lo, s61
	s_and_saveexec_b32 s61, s62
	s_delay_alu instid0(SALU_CYCLE_1)
	s_xor_b32 s61, exec_lo, s61
	s_cbranch_execz .LBB6_188
; %bb.187:                              ;   in Loop: Header=BB6_57 Depth=2
	ds_store_b32 v0, v59
	s_trap 2
.LBB6_188:                              ;   in Loop: Header=BB6_57 Depth=2
	s_or_b32 exec_lo, exec_lo, s60
	;;#ASMSTART
	s_wakeup
	;;#ASMEND
.LBB6_189:                              ;   in Loop: Header=BB6_57 Depth=2
	s_or_b32 exec_lo, exec_lo, s41
.LBB6_190:                              ;   in Loop: Header=BB6_57 Depth=2
	s_and_not1_saveexec_b32 s40, s40
	s_cbranch_execz .LBB6_192
; %bb.191:                              ;   in Loop: Header=BB6_57 Depth=2
	;;#ASMSTART
	s_waitcnt lgkmcnt(0) vmcnt(0)
	;;#ASMEND
	s_barrier_signal -1
	s_barrier_wait -1
.LBB6_192:                              ;   in Loop: Header=BB6_57 Depth=2
	s_or_b32 exec_lo, exec_lo, s40
	v_and_b32_e32 v2, 16, v30
.LBB6_193:                              ;   in Loop: Header=BB6_57 Depth=2
	s_or_b32 exec_lo, exec_lo, s13
	s_delay_alu instid0(SALU_CYCLE_1) | instskip(NEXT) | instid1(VALU_DEP_1)
	s_mov_b32 s13, exec_lo
	v_cmpx_ne_u32_e32 0, v2
	s_cbranch_execz .LBB6_56
; %bb.194:                              ;   in Loop: Header=BB6_57 Depth=2
	s_and_saveexec_b32 s40, s5
	s_cbranch_execz .LBB6_55
; %bb.195:                              ;   in Loop: Header=BB6_57 Depth=2
	global_wb scope:SCOPE_SYS
	s_wait_storecnt 0x0
	s_wait_loadcnt_dscnt 0x0
	flat_store_b32 v[26:27], v59 scope:SCOPE_SYS
	s_branch .LBB6_55
.LBB6_196:                              ;   in Loop: Header=BB6_47 Depth=1
	s_or_b32 exec_lo, exec_lo, s15
.LBB6_197:                              ;   in Loop: Header=BB6_47 Depth=1
	s_delay_alu instid0(SALU_CYCLE_1) | instskip(NEXT) | instid1(SALU_CYCLE_1)
	s_or_b32 exec_lo, exec_lo, s14
	s_mov_b32 s14, exec_lo
	v_cmpx_gt_i32_e32 2, v2
	s_cbranch_execz .LBB6_271
; %bb.198:                              ;   in Loop: Header=BB6_47 Depth=1
	v_cmp_eq_u32_e64 s18, 0, v2
	s_mov_b32 s15, 0
	s_branch .LBB6_201
.LBB6_199:                              ;   in Loop: Header=BB6_201 Depth=2
	s_wait_xcnt 0x0
	s_or_b32 exec_lo, exec_lo, s18
	v_add_nc_u64_e32 v[96:97], 2, v[96:97]
	global_wb scope:SCOPE_SYS
	s_wait_storecnt 0x0
	s_wait_loadcnt_dscnt 0x0
	flat_store_b64 v[20:21], v[96:97] scope:SCOPE_SYS
.LBB6_200:                              ;   in Loop: Header=BB6_201 Depth=2
	s_wait_xcnt 0x0
	s_or_b32 exec_lo, exec_lo, s13
	v_add_nc_u32_e32 v10, v8, v10
	s_mov_b32 s18, 0
	s_and_not1_b32 exec_lo, exec_lo, s15
	s_cbranch_execz .LBB6_270
.LBB6_201:                              ;   Parent Loop BB6_47 Depth=1
                                        ; =>  This Loop Header: Depth=2
                                        ;       Child Loop BB6_207 Depth 3
                                        ;       Child Loop BB6_231 Depth 3
	;; [unrolled: 1-line block ×3, first 2 shown]
	s_delay_alu instid0(VALU_DEP_1) | instskip(SKIP_2) | instid1(VALU_DEP_2)
	v_sub_nc_u32_e32 v2, v42, v10
	v_and_b32_e32 v9, 8, v30
	s_mov_b32 s27, exec_lo
	v_min_i32_e32 v8, v8, v2
	s_delay_alu instid0(VALU_DEP_2)
	v_cmpx_ne_u32_e32 0, v9
	s_cbranch_execz .LBB6_223
; %bb.202:                              ;   in Loop: Header=BB6_201 Depth=2
	s_wait_loadcnt_dscnt 0x1
	v_add_nc_u64_e32 v[16:17], 8, v[28:29]
	v_add_nc_u64_e32 v[102:103], 2, v[96:97]
	s_mov_b32 s40, exec_lo
	s_delay_alu instid0(VALU_DEP_1)
	v_cmpx_lt_u64_e64 v[16:17], v[102:103]
	s_cbranch_execz .LBB6_214
; %bb.203:                              ;   in Loop: Header=BB6_201 Depth=2
	v_and_b32_e32 v2, 64, v30
	s_mov_b32 s41, 0
	s_mov_b32 s63, 0
                                        ; implicit-def: $sgpr60
                                        ; implicit-def: $sgpr61
                                        ; implicit-def: $sgpr62
	s_delay_alu instid0(VALU_DEP_1)
	v_cmp_eq_u32_e32 vcc_lo, 0, v2
	s_branch .LBB6_207
.LBB6_204:                              ;   in Loop: Header=BB6_207 Depth=3
	s_wait_loadcnt_dscnt 0x0
	v_add_nc_u64_e32 v[16:17], 8, v[28:29]
	s_or_b32 s74, s74, exec_lo
	s_delay_alu instid0(VALU_DEP_1)
	v_cmp_ge_u64_e64 s13, v[16:17], v[102:103]
	s_or_not1_b32 s73, s13, exec_lo
.LBB6_205:                              ;   in Loop: Header=BB6_207 Depth=3
	s_or_b32 exec_lo, exec_lo, s76
	s_delay_alu instid0(SALU_CYCLE_1)
	s_and_not1_b32 s13, s62, exec_lo
	s_and_b32 s62, s74, exec_lo
	s_and_not1_b32 s61, s61, exec_lo
	s_and_b32 s73, s73, exec_lo
	s_or_b32 s62, s13, s62
	s_or_b32 s61, s61, s73
.LBB6_206:                              ;   in Loop: Header=BB6_207 Depth=3
	s_or_b32 exec_lo, exec_lo, s72
	s_delay_alu instid0(SALU_CYCLE_1) | instskip(NEXT) | instid1(SALU_CYCLE_1)
	s_and_b32 s13, exec_lo, s61
	s_or_b32 s41, s13, s41
	s_and_not1_b32 s13, s60, exec_lo
	s_and_b32 s60, s62, exec_lo
	s_delay_alu instid0(SALU_CYCLE_1)
	s_or_b32 s60, s13, s60
	s_and_not1_b32 exec_lo, exec_lo, s41
	s_cbranch_execz .LBB6_211
.LBB6_207:                              ;   Parent Loop BB6_47 Depth=1
                                        ;     Parent Loop BB6_201 Depth=2
                                        ; =>    This Inner Loop Header: Depth=3
	s_sleep 1
	s_wait_loadcnt_dscnt 0x0
	flat_load_b64 v[28:29], v[20:21] scope:SCOPE_SYS
	s_or_b32 s62, s62, exec_lo
	s_or_b32 s61, s61, exec_lo
                                        ; implicit-def: $vgpr2
	s_wait_xcnt 0x0
	s_and_saveexec_b32 s72, vcc_lo
	s_cbranch_execz .LBB6_206
; %bb.208:                              ;   in Loop: Header=BB6_207 Depth=3
	s_cmp_lt_i32 s63, 0x270f
	s_mov_b32 s73, -1
	s_cselect_b32 s75, -1, 0
	s_cmp_gt_i32 s63, 0x270e
	s_cbranch_scc0 .LBB6_210
; %bb.209:                              ;   in Loop: Header=BB6_207 Depth=3
	s_trap 2
	ds_load_b64 v[16:17], v0
	s_and_not1_b32 s63, s75, exec_lo
	s_mov_b32 s74, 0
	s_wait_storecnt 0x0
	s_wait_loadcnt_dscnt 0x0
	flat_load_b32 v2, v[16:17] scope:SCOPE_SYS
	s_wait_loadcnt_dscnt 0x0
	global_inv scope:SCOPE_SYS
	v_cmp_eq_u32_e64 s13, 0, v2
	s_and_b32 s13, s13, exec_lo
	s_delay_alu instid0(SALU_CYCLE_1)
	s_or_b32 s75, s63, s13
	s_mov_b32 s63, 0
	s_and_saveexec_b32 s76, s75
	s_cbranch_execz .LBB6_205
	s_branch .LBB6_204
.LBB6_210:                              ;   in Loop: Header=BB6_207 Depth=3
	s_add_co_i32 s63, s63, 1
	s_mov_b32 s74, -1
                                        ; implicit-def: $vgpr2
	s_and_saveexec_b32 s76, s75
	s_cbranch_execz .LBB6_205
	s_branch .LBB6_204
.LBB6_211:                              ;   in Loop: Header=BB6_201 Depth=2
	s_or_b32 exec_lo, exec_lo, s41
	s_xor_b32 s13, s60, -1
	s_delay_alu instid0(SALU_CYCLE_1) | instskip(NEXT) | instid1(SALU_CYCLE_1)
	s_and_saveexec_b32 s41, s13
	s_xor_b32 s13, exec_lo, s41
	s_cbranch_execz .LBB6_213
; %bb.212:                              ;   in Loop: Header=BB6_201 Depth=2
	v_or_b32_e32 v30, 64, v30
	s_wait_storecnt 0x0
	s_wait_loadcnt_dscnt 0x0
	ds_store_b32 v0, v2
	s_trap 2
.LBB6_213:                              ;   in Loop: Header=BB6_201 Depth=2
	s_or_b32 exec_lo, exec_lo, s13
.LBB6_214:                              ;   in Loop: Header=BB6_201 Depth=2
	s_delay_alu instid0(SALU_CYCLE_1) | instskip(SKIP_4) | instid1(VALU_DEP_1)
	s_or_b32 exec_lo, exec_lo, s40
	v_and_b32_e32 v2, 0x100, v30
	s_mov_b32 s40, 0
	s_mov_b32 s13, exec_lo
	;;#ASMSTART
	s_wakeup
	;;#ASMEND
                                        ; implicit-def: $vgpr112_vgpr113
	v_cmpx_ne_u32_e32 0, v2
	s_xor_b32 s13, exec_lo, s13
	s_cbranch_execz .LBB6_235
; %bb.215:                              ;   in Loop: Header=BB6_201 Depth=2
	v_and_b32_e32 v2, 7, v96
	v_ashrrev_i32_e32 v9, 31, v8
	s_mov_b32 s40, -1
	s_mov_b32 s41, exec_lo
                                        ; implicit-def: $vgpr112_vgpr113
	s_delay_alu instid0(VALU_DEP_2) | instskip(NEXT) | instid1(VALU_DEP_2)
	v_mad_nc_u64_u32 v[96:97], v2, 24, v[6:7]
	v_lshlrev_b64_e32 v[16:17], 2, v[8:9]
	s_clause 0x1
	flat_load_b32 v11, v[96:97]
	flat_store_b64 v[96:97], v[16:17] offset:8
	s_wait_loadcnt_dscnt 0x1
	v_cmpx_eq_u32_e32 1, v11
	s_cbranch_execz .LBB6_217
; %bb.216:                              ;   in Loop: Header=BB6_201 Depth=2
	flat_load_b32 v16, v[96:97] offset:4 scope:SCOPE_SYS
	s_xor_b32 s40, exec_lo, -1
	s_wait_loadcnt_dscnt 0x0
	v_ashrrev_i32_e32 v17, 31, v16
	s_delay_alu instid0(VALU_DEP_1)
	v_lshrrev_b64 v[112:113], 2, v[16:17]
.LBB6_217:                              ;   in Loop: Header=BB6_201 Depth=2
	s_wait_xcnt 0x0
	s_or_b32 exec_lo, exec_lo, s41
	s_delay_alu instid0(SALU_CYCLE_1)
	s_and_b32 s40, s40, exec_lo
                                        ; implicit-def: $vgpr96_vgpr97
	s_and_not1_saveexec_b32 s13, s13
	s_cbranch_execnz .LBB6_236
.LBB6_218:                              ;   in Loop: Header=BB6_201 Depth=2
	s_or_b32 exec_lo, exec_lo, s13
	s_and_saveexec_b32 s13, s40
.LBB6_219:                              ;   in Loop: Header=BB6_201 Depth=2
	v_mul_u64_e32 v[112:113], v[2:3], v[22:23]
.LBB6_220:                              ;   in Loop: Header=BB6_201 Depth=2
	s_or_b32 exec_lo, exec_lo, s13
	v_and_b32_e32 v2, 0x2000, v30
	s_delay_alu instid0(VALU_DEP_2)
	v_lshl_add_u64 v[16:17], v[112:113], 2, v[24:25]
	s_mov_b32 s13, exec_lo
	ds_store_b64 v0, v[16:17] offset:784
	v_cmpx_ne_u32_e32 0, v2
	s_cbranch_execz .LBB6_222
; %bb.221:                              ;   in Loop: Header=BB6_201 Depth=2
	ds_load_b64 v[16:17], v0 offset:872
	s_wait_dscnt 0x0
	v_add_nc_u64_e32 v[16:17], 1, v[16:17]
	ds_store_b64 v0, v[16:17] offset:872
.LBB6_222:                              ;   in Loop: Header=BB6_201 Depth=2
	s_or_b32 exec_lo, exec_lo, s13
	v_mov_b64_e32 v[96:97], v[102:103]
.LBB6_223:                              ;   in Loop: Header=BB6_201 Depth=2
	s_or_b32 exec_lo, exec_lo, s27
	s_xor_b32 s13, s18, -1
	s_delay_alu instid0(SALU_CYCLE_1) | instskip(NEXT) | instid1(SALU_CYCLE_1)
	s_and_b32 s13, exec_lo, s13
	s_or_b32 s15, s13, s15
	s_and_saveexec_b32 s13, s2
	s_cbranch_execz .LBB6_244
; %bb.224:                              ;   in Loop: Header=BB6_201 Depth=2
	s_and_saveexec_b32 s18, s3
	s_delay_alu instid0(SALU_CYCLE_1)
	s_xor_b32 s18, exec_lo, s18
	s_cbranch_execz .LBB6_241
; %bb.225:                              ;   in Loop: Header=BB6_201 Depth=2
	s_and_saveexec_b32 s27, s6
	s_cbranch_execz .LBB6_240
; %bb.226:                              ;   in Loop: Header=BB6_201 Depth=2
	s_mov_b32 s41, exec_lo
	s_mov_b32 s40, exec_lo
	v_mbcnt_lo_u32_b32 v2, s41, 0
	global_wb scope:SCOPE_DEV
	s_wait_storecnt 0x0
	s_wait_loadcnt_dscnt 0x0
	global_inv scope:SCOPE_DEV
	v_cmpx_eq_u32_e32 0, v2
	s_cbranch_execz .LBB6_228
; %bb.227:                              ;   in Loop: Header=BB6_201 Depth=2
	s_bcnt1_i32_b32 s41, s41
	s_delay_alu instid0(SALU_CYCLE_1)
	v_mov_b32_e32 v2, s41
	s_wait_loadcnt 0x0
	ds_add_u64 v0, v[2:3]
	s_trap 2
.LBB6_228:                              ;   in Loop: Header=BB6_201 Depth=2
	s_or_b32 exec_lo, exec_lo, s40
	s_trap 2
	ds_load_b64 v[16:17], v0
	s_wait_dscnt 0x0
	v_add_nc_u64_e32 v[12:13], v[12:13], v[32:33]
	s_mov_b32 s40, exec_lo
	s_delay_alu instid0(VALU_DEP_1)
	v_cmpx_lt_u64_e64 v[16:17], v[12:13]
	s_cbranch_execz .LBB6_239
; %bb.229:                              ;   in Loop: Header=BB6_201 Depth=2
	s_mov_b32 s41, 0
	s_mov_b32 s62, 0
                                        ; implicit-def: $sgpr60
                                        ; implicit-def: $sgpr61
	s_branch .LBB6_231
.LBB6_230:                              ;   in Loop: Header=BB6_231 Depth=3
	s_or_b32 exec_lo, exec_lo, s72
	s_delay_alu instid0(SALU_CYCLE_1) | instskip(NEXT) | instid1(SALU_CYCLE_1)
	s_and_b32 s63, exec_lo, s73
	s_or_b32 s41, s63, s41
	s_and_not1_b32 s60, s60, exec_lo
	s_and_b32 s63, s61, exec_lo
	s_delay_alu instid0(SALU_CYCLE_1)
	s_or_b32 s60, s60, s63
	s_and_not1_b32 exec_lo, exec_lo, s41
	s_cbranch_execz .LBB6_237
.LBB6_231:                              ;   Parent Loop BB6_47 Depth=1
                                        ;     Parent Loop BB6_201 Depth=2
                                        ; =>    This Inner Loop Header: Depth=3
	s_add_co_i32 s62, s62, 1
	s_delay_alu instid0(SALU_CYCLE_1) | instskip(SKIP_1) | instid1(SALU_CYCLE_1)
	s_cmp_lg_u32 s62, 0x2710
	s_cselect_b32 s63, -1, 0
	s_and_b32 vcc_lo, exec_lo, s63
	s_cbranch_vccz .LBB6_233
; %bb.232:                              ;   in Loop: Header=BB6_231 Depth=3
	s_mov_b32 s73, -1
	s_or_b32 s61, s61, exec_lo
	s_and_saveexec_b32 s72, s63
	s_cbranch_execz .LBB6_230
	s_branch .LBB6_234
.LBB6_233:                              ;   in Loop: Header=BB6_231 Depth=3
	s_trap 2
	ds_load_b64 v[16:17], v0
	s_and_not1_b32 s63, s63, exec_lo
	s_mov_b32 s62, 0
	s_wait_loadcnt_dscnt 0x0
	flat_load_b32 v2, v[16:17] scope:SCOPE_SYS
	s_wait_loadcnt_dscnt 0x0
	global_inv scope:SCOPE_SYS
	v_cmp_eq_u32_e32 vcc_lo, 0, v2
	s_and_b32 s72, vcc_lo, exec_lo
	s_delay_alu instid0(SALU_CYCLE_1)
	s_or_b32 s63, s63, s72
	s_mov_b32 s73, -1
	s_or_b32 s61, s61, exec_lo
	s_and_saveexec_b32 s72, s63
	s_cbranch_execz .LBB6_230
.LBB6_234:                              ;   in Loop: Header=BB6_231 Depth=3
	s_sleep 1
	s_trap 2
	ds_load_b64 v[16:17], v0
	s_wait_dscnt 0x0
	s_and_not1_b32 s61, s61, exec_lo
	v_cmp_ge_u64_e32 vcc_lo, v[16:17], v[12:13]
	s_or_not1_b32 s73, vcc_lo, exec_lo
	s_branch .LBB6_230
.LBB6_235:                              ;   in Loop: Header=BB6_201 Depth=2
	s_and_not1_saveexec_b32 s13, s13
	s_cbranch_execz .LBB6_218
.LBB6_236:                              ;   in Loop: Header=BB6_201 Depth=2
	v_and_b32_e32 v2, 7, v96
	s_or_b32 s40, s40, exec_lo
	s_or_b32 exec_lo, exec_lo, s13
	s_and_saveexec_b32 s13, s40
	s_cbranch_execnz .LBB6_219
	s_branch .LBB6_220
.LBB6_237:                              ;   in Loop: Header=BB6_201 Depth=2
	s_or_b32 exec_lo, exec_lo, s41
	s_and_saveexec_b32 s41, s60
	s_delay_alu instid0(SALU_CYCLE_1)
	s_xor_b32 s41, exec_lo, s41
	s_cbranch_execz .LBB6_239
; %bb.238:                              ;   in Loop: Header=BB6_201 Depth=2
	ds_store_b32 v0, v59
	s_trap 2
.LBB6_239:                              ;   in Loop: Header=BB6_201 Depth=2
	s_or_b32 exec_lo, exec_lo, s40
	;;#ASMSTART
	s_wakeup
	;;#ASMEND
.LBB6_240:                              ;   in Loop: Header=BB6_201 Depth=2
	s_or_b32 exec_lo, exec_lo, s27
.LBB6_241:                              ;   in Loop: Header=BB6_201 Depth=2
	s_and_not1_saveexec_b32 s18, s18
	s_cbranch_execz .LBB6_243
; %bb.242:                              ;   in Loop: Header=BB6_201 Depth=2
	global_wb scope:SCOPE_DEV
	s_wait_storecnt 0x0
	s_wait_loadcnt_dscnt 0x0
	global_inv scope:SCOPE_DEV
	s_barrier_signal -1
	s_barrier_wait -1
.LBB6_243:                              ;   in Loop: Header=BB6_201 Depth=2
	s_or_b32 exec_lo, exec_lo, s18
.LBB6_244:                              ;   in Loop: Header=BB6_201 Depth=2
	s_delay_alu instid0(SALU_CYCLE_1) | instskip(SKIP_1) | instid1(SALU_CYCLE_1)
	s_or_b32 exec_lo, exec_lo, s13
                                        ; implicit-def: $vgpr2
	s_and_saveexec_b32 s13, s10
	s_xor_b32 s18, exec_lo, s13
	s_cbranch_execz .LBB6_248
; %bb.245:                              ;   in Loop: Header=BB6_201 Depth=2
	s_trap 2
	ds_load_b32 v2, v0
	v_cmp_lt_i32_e32 vcc_lo, 0, v8
	s_wait_dscnt 0x0
	v_readfirstlane_b32 s13, v2
	v_and_b32_e32 v2, 16, v30
	s_cmp_eq_u32 s13, 0
	s_delay_alu instid0(VALU_DEP_1) | instskip(SKIP_3) | instid1(SALU_CYCLE_1)
	v_cmp_ne_u32_e64 s13, 0, v2
	s_cselect_b32 s27, -1, 0
	v_and_b32_e32 v2, 16, v30
	s_and_b32 s27, vcc_lo, s27
	s_and_b32 s27, s13, s27
	s_delay_alu instid0(SALU_CYCLE_1)
	s_and_saveexec_b32 s13, s27
	s_cbranch_execz .LBB6_247
; %bb.246:                              ;   in Loop: Header=BB6_201 Depth=2
	v_mov_b32_e32 v2, 1
	global_wb scope:SCOPE_SYS
	s_wait_loadcnt 0x0
	s_wait_storecnt 0x0
	global_inv scope:SCOPE_SYS
.LBB6_247:                              ;   in Loop: Header=BB6_201 Depth=2
	s_or_b32 exec_lo, exec_lo, s13
	s_and_not1_saveexec_b32 s13, s18
	s_cbranch_execz .LBB6_267
	s_branch .LBB6_249
.LBB6_248:                              ;   in Loop: Header=BB6_201 Depth=2
	s_and_not1_saveexec_b32 s13, s18
	s_cbranch_execz .LBB6_267
.LBB6_249:                              ;   in Loop: Header=BB6_201 Depth=2
	s_and_saveexec_b32 s18, s3
	s_delay_alu instid0(SALU_CYCLE_1)
	s_xor_b32 s18, exec_lo, s18
	s_cbranch_execz .LBB6_264
; %bb.250:                              ;   in Loop: Header=BB6_201 Depth=2
	s_and_saveexec_b32 s27, s6
	s_cbranch_execz .LBB6_263
; %bb.251:                              ;   in Loop: Header=BB6_201 Depth=2
	s_mov_b32 s41, exec_lo
	s_mov_b32 s40, exec_lo
	v_mbcnt_lo_u32_b32 v2, s41, 0
	;;#ASMSTART
	s_waitcnt lgkmcnt(0) vmcnt(0)
	;;#ASMEND
	s_delay_alu instid0(VALU_DEP_1)
	v_cmpx_eq_u32_e32 0, v2
	s_cbranch_execz .LBB6_253
; %bb.252:                              ;   in Loop: Header=BB6_201 Depth=2
	s_bcnt1_i32_b32 s41, s41
	s_delay_alu instid0(SALU_CYCLE_1)
	v_mov_b32_e32 v2, s41
	s_wait_storecnt 0x0
	s_wait_loadcnt_dscnt 0x0
	ds_add_u64 v0, v[2:3]
	s_trap 2
.LBB6_253:                              ;   in Loop: Header=BB6_201 Depth=2
	s_or_b32 exec_lo, exec_lo, s40
	s_trap 2
	ds_load_b64 v[16:17], v0
	s_wait_dscnt 0x0
	v_add_nc_u64_e32 v[12:13], v[12:13], v[32:33]
	s_mov_b32 s40, exec_lo
	s_delay_alu instid0(VALU_DEP_1)
	v_cmpx_lt_u64_e64 v[16:17], v[12:13]
	s_cbranch_execz .LBB6_262
; %bb.254:                              ;   in Loop: Header=BB6_201 Depth=2
	s_mov_b32 s41, 0
	s_mov_b32 s62, 0
                                        ; implicit-def: $sgpr60
                                        ; implicit-def: $sgpr61
	s_branch .LBB6_256
.LBB6_255:                              ;   in Loop: Header=BB6_256 Depth=3
	s_or_b32 exec_lo, exec_lo, s72
	s_delay_alu instid0(SALU_CYCLE_1) | instskip(NEXT) | instid1(SALU_CYCLE_1)
	s_and_b32 s63, exec_lo, s73
	s_or_b32 s41, s63, s41
	s_and_not1_b32 s60, s60, exec_lo
	s_and_b32 s63, s61, exec_lo
	s_delay_alu instid0(SALU_CYCLE_1)
	s_or_b32 s60, s60, s63
	s_and_not1_b32 exec_lo, exec_lo, s41
	s_cbranch_execz .LBB6_260
.LBB6_256:                              ;   Parent Loop BB6_47 Depth=1
                                        ;     Parent Loop BB6_201 Depth=2
                                        ; =>    This Inner Loop Header: Depth=3
	s_add_co_i32 s62, s62, 1
	s_delay_alu instid0(SALU_CYCLE_1) | instskip(SKIP_1) | instid1(SALU_CYCLE_1)
	s_cmp_lg_u32 s62, 0x2710
	s_cselect_b32 s63, -1, 0
	s_and_b32 vcc_lo, exec_lo, s63
	s_cbranch_vccz .LBB6_258
; %bb.257:                              ;   in Loop: Header=BB6_256 Depth=3
	s_mov_b32 s73, -1
	s_or_b32 s61, s61, exec_lo
	s_and_saveexec_b32 s72, s63
	s_cbranch_execz .LBB6_255
	s_branch .LBB6_259
.LBB6_258:                              ;   in Loop: Header=BB6_256 Depth=3
	s_trap 2
	ds_load_b64 v[16:17], v0
	s_and_not1_b32 s63, s63, exec_lo
	s_mov_b32 s62, 0
	s_wait_storecnt 0x0
	s_wait_loadcnt_dscnt 0x0
	flat_load_b32 v2, v[16:17] scope:SCOPE_SYS
	s_wait_loadcnt_dscnt 0x0
	global_inv scope:SCOPE_SYS
	v_cmp_eq_u32_e32 vcc_lo, 0, v2
	s_and_b32 s72, vcc_lo, exec_lo
	s_delay_alu instid0(SALU_CYCLE_1)
	s_or_b32 s63, s63, s72
	s_mov_b32 s73, -1
	s_or_b32 s61, s61, exec_lo
	s_and_saveexec_b32 s72, s63
	s_cbranch_execz .LBB6_255
.LBB6_259:                              ;   in Loop: Header=BB6_256 Depth=3
	s_sleep 1
	s_trap 2
	ds_load_b64 v[16:17], v0
	s_wait_dscnt 0x0
	s_and_not1_b32 s61, s61, exec_lo
	v_cmp_ge_u64_e32 vcc_lo, v[16:17], v[12:13]
	s_or_not1_b32 s73, vcc_lo, exec_lo
	s_branch .LBB6_255
.LBB6_260:                              ;   in Loop: Header=BB6_201 Depth=2
	s_or_b32 exec_lo, exec_lo, s41
	s_and_saveexec_b32 s41, s60
	s_delay_alu instid0(SALU_CYCLE_1)
	s_xor_b32 s41, exec_lo, s41
	s_cbranch_execz .LBB6_262
; %bb.261:                              ;   in Loop: Header=BB6_201 Depth=2
	ds_store_b32 v0, v59
	s_trap 2
.LBB6_262:                              ;   in Loop: Header=BB6_201 Depth=2
	s_or_b32 exec_lo, exec_lo, s40
	;;#ASMSTART
	s_wakeup
	;;#ASMEND
.LBB6_263:                              ;   in Loop: Header=BB6_201 Depth=2
	s_or_b32 exec_lo, exec_lo, s27
.LBB6_264:                              ;   in Loop: Header=BB6_201 Depth=2
	s_and_not1_saveexec_b32 s18, s18
	s_cbranch_execz .LBB6_266
; %bb.265:                              ;   in Loop: Header=BB6_201 Depth=2
	;;#ASMSTART
	s_waitcnt lgkmcnt(0) vmcnt(0)
	;;#ASMEND
	s_barrier_signal -1
	s_barrier_wait -1
.LBB6_266:                              ;   in Loop: Header=BB6_201 Depth=2
	s_or_b32 exec_lo, exec_lo, s18
	v_and_b32_e32 v2, 16, v30
.LBB6_267:                              ;   in Loop: Header=BB6_201 Depth=2
	s_or_b32 exec_lo, exec_lo, s13
	s_delay_alu instid0(SALU_CYCLE_1) | instskip(NEXT) | instid1(VALU_DEP_1)
	s_mov_b32 s13, exec_lo
	v_cmpx_ne_u32_e32 0, v2
	s_cbranch_execz .LBB6_200
; %bb.268:                              ;   in Loop: Header=BB6_201 Depth=2
	s_and_saveexec_b32 s18, s5
	s_cbranch_execz .LBB6_199
; %bb.269:                              ;   in Loop: Header=BB6_201 Depth=2
	global_wb scope:SCOPE_SYS
	s_wait_storecnt 0x0
	s_wait_loadcnt_dscnt 0x0
	flat_store_b32 v[26:27], v59 scope:SCOPE_SYS
	s_branch .LBB6_199
.LBB6_270:                              ;   in Loop: Header=BB6_47 Depth=1
	s_or_b32 exec_lo, exec_lo, s15
.LBB6_271:                              ;   in Loop: Header=BB6_47 Depth=1
	s_delay_alu instid0(SALU_CYCLE_1) | instskip(NEXT) | instid1(SALU_CYCLE_1)
	s_or_b32 exec_lo, exec_lo, s14
	s_and_not1_b32 vcc_lo, exec_lo, s46
	s_cbranch_vccnz .LBB6_496
; %bb.272:                              ;   in Loop: Header=BB6_47 Depth=1
	s_mov_b32 s14, 2
	s_branch .LBB6_275
.LBB6_273:                              ;   in Loop: Header=BB6_275 Depth=2
	s_or_b32 exec_lo, exec_lo, s18
.LBB6_274:                              ;   in Loop: Header=BB6_275 Depth=2
	s_delay_alu instid0(SALU_CYCLE_1) | instskip(SKIP_1) | instid1(SALU_CYCLE_1)
	s_or_b32 exec_lo, exec_lo, s15
	s_add_co_i32 s14, s14, 1
	s_cmp_eq_u32 s14, s16
	s_cbranch_scc1 .LBB6_496
.LBB6_275:                              ;   Parent Loop BB6_47 Depth=1
                                        ; =>  This Loop Header: Depth=2
                                        ;       Child Loop BB6_278 Depth 3
                                        ;         Child Loop BB6_286 Depth 4
                                        ;         Child Loop BB6_314 Depth 4
	;; [unrolled: 1-line block ×9, first 2 shown]
                                        ;       Child Loop BB6_424 Depth 3
                                        ;         Child Loop BB6_430 Depth 4
                                        ;         Child Loop BB6_458 Depth 4
	;; [unrolled: 1-line block ×3, first 2 shown]
	s_sub_co_i32 s13, s44, s14
	s_mov_b32 s18, 0
	s_cmp_ge_i32 s13, s16
	v_mov_b32_e32 v10, 0
	s_cselect_b32 s15, s16, 0
	s_delay_alu instid0(SALU_CYCLE_1) | instskip(NEXT) | instid1(SALU_CYCLE_1)
	s_sub_co_i32 s40, s13, s15
	s_ashr_i32 s41, s40, 31
	s_delay_alu instid0(SALU_CYCLE_1) | instskip(NEXT) | instid1(VALU_DEP_1)
	v_mul_u64_e32 v[102:103], s[40:41], v[86:87]
	v_sub_nc_u64_e32 v[8:9], v[98:99], v[102:103]
	s_delay_alu instid0(VALU_DEP_1) | instskip(NEXT) | instid1(VALU_DEP_1)
	v_min_i64 v[8:9], v[86:87], v[8:9]
	v_max_i32_e32 v42, 0, v8
	v_cmp_lt_i32_e32 vcc_lo, 0, v8
	s_delay_alu instid0(VALU_DEP_2) | instskip(SKIP_1) | instid1(VALU_DEP_1)
	v_add_nc_u32_e32 v2, 31, v42
	s_and_b32 s13, s57, vcc_lo
	v_lshrrev_b32_e32 v2, 1, v2
	s_delay_alu instid0(VALU_DEP_1) | instskip(NEXT) | instid1(VALU_DEP_1)
	v_and_b32_e32 v9, 0x3ffffff0, v2
	v_dual_mov_b32 v2, 0 :: v_dual_max_i32 v8, s45, v9
	s_and_saveexec_b32 s15, s13
	s_cbranch_execz .LBB6_421
; %bb.276:                              ;   in Loop: Header=BB6_275 Depth=2
	v_mov_b32_e32 v10, 0
	s_mov_b32 s40, 1
	s_mov_b32 s27, -1
	s_branch .LBB6_278
.LBB6_277:                              ;   in Loop: Header=BB6_278 Depth=3
	s_wait_xcnt 0x0
	s_or_b32 exec_lo, exec_lo, s13
	v_dual_add_nc_u32 v10, v8, v10 :: v_dual_mov_b32 v2, s40
	s_xor_b32 s13, s27, -1
	s_mov_b32 s27, 0
	s_mov_b32 s40, 2
	s_delay_alu instid0(VALU_DEP_1) | instskip(SKIP_1) | instid1(SALU_CYCLE_1)
	v_cmp_ge_i32_e32 vcc_lo, v10, v42
	s_or_b32 s13, s13, vcc_lo
	s_and_b32 s13, exec_lo, s13
	s_delay_alu instid0(SALU_CYCLE_1) | instskip(NEXT) | instid1(SALU_CYCLE_1)
	s_or_b32 s18, s13, s18
	s_and_not1_b32 exec_lo, exec_lo, s18
	s_cbranch_execz .LBB6_420
.LBB6_278:                              ;   Parent Loop BB6_47 Depth=1
                                        ;     Parent Loop BB6_275 Depth=2
                                        ; =>    This Loop Header: Depth=3
                                        ;         Child Loop BB6_286 Depth 4
                                        ;         Child Loop BB6_314 Depth 4
                                        ;         Child Loop BB6_333 Depth 4
                                        ;         Child Loop BB6_359 Depth 4
                                        ;         Child Loop BB6_364 Depth 4
                                        ;         Child Loop BB6_372 Depth 4
                                        ;         Child Loop BB6_377 Depth 4
                                        ;         Child Loop BB6_386 Depth 4
                                        ;         Child Loop BB6_405 Depth 4
	s_and_saveexec_b32 s13, s0
	s_cbranch_execz .LBB6_280
; %bb.279:                              ;   in Loop: Header=BB6_278 Depth=3
	s_trap 2
	ds_load_b64 v[16:17], v0
	v_ashrrev_i32_e32 v11, 31, v10
	s_wait_dscnt 0x0
	v_lshl_add_u64 v[16:17], v[100:101], 2, v[16:17]
	s_delay_alu instid0(VALU_DEP_1) | instskip(NEXT) | instid1(VALU_DEP_1)
	v_lshl_add_u64 v[16:17], v[102:103], 2, v[16:17]
	v_lshl_add_u64 v[16:17], v[10:11], 2, v[16:17]
	ds_store_b64 v0, v[16:17]
	ds_store_b64 v0, v[34:35]
.LBB6_280:                              ;   in Loop: Header=BB6_278 Depth=3
	s_or_b32 exec_lo, exec_lo, s13
	v_sub_nc_u32_e32 v2, v42, v10
	v_and_b32_e32 v9, 12, v30
	s_mov_b32 s41, exec_lo
	s_delay_alu instid0(VALU_DEP_2) | instskip(NEXT) | instid1(VALU_DEP_2)
	v_min_i32_e32 v8, v8, v2
	v_cmpx_ne_u32_e32 0, v9
	s_cbranch_execz .LBB6_306
; %bb.281:                              ;   in Loop: Header=BB6_278 Depth=3
	v_and_b32_e32 v2, 8, v30
	v_add_nc_u64_e32 v[112:113], 2, v[96:97]
	s_mov_b32 s60, exec_lo
	s_wait_loadcnt_dscnt 0x1
	s_delay_alu instid0(VALU_DEP_2) | instskip(NEXT) | instid1(VALU_DEP_1)
	v_add_nc_u64_e32 v[16:17], v[28:29], v[2:3]
	v_cmpx_lt_u64_e64 v[16:17], v[112:113]
	s_cbranch_execz .LBB6_293
; %bb.282:                              ;   in Loop: Header=BB6_278 Depth=3
	v_and_b32_e32 v9, 64, v30
	s_mov_b32 s61, 0
	s_mov_b32 s73, 0
                                        ; implicit-def: $sgpr62
                                        ; implicit-def: $sgpr63
                                        ; implicit-def: $sgpr72
	s_delay_alu instid0(VALU_DEP_1)
	v_cmp_eq_u32_e32 vcc_lo, 0, v9
	s_branch .LBB6_286
.LBB6_283:                              ;   in Loop: Header=BB6_286 Depth=4
	s_wait_loadcnt_dscnt 0x0
	v_add_nc_u64_e32 v[16:17], v[28:29], v[2:3]
	s_or_b32 s76, s76, exec_lo
	s_delay_alu instid0(VALU_DEP_1)
	v_cmp_ge_u64_e64 s13, v[16:17], v[112:113]
	s_or_not1_b32 s75, s13, exec_lo
.LBB6_284:                              ;   in Loop: Header=BB6_286 Depth=4
	s_or_b32 exec_lo, exec_lo, s78
	s_delay_alu instid0(SALU_CYCLE_1)
	s_and_not1_b32 s13, s72, exec_lo
	s_and_b32 s72, s76, exec_lo
	s_and_not1_b32 s63, s63, exec_lo
	s_and_b32 s75, s75, exec_lo
	s_or_b32 s72, s13, s72
	s_or_b32 s63, s63, s75
.LBB6_285:                              ;   in Loop: Header=BB6_286 Depth=4
	s_or_b32 exec_lo, exec_lo, s74
	s_delay_alu instid0(SALU_CYCLE_1) | instskip(NEXT) | instid1(SALU_CYCLE_1)
	s_and_b32 s13, exec_lo, s63
	s_or_b32 s61, s13, s61
	s_and_not1_b32 s13, s62, exec_lo
	s_and_b32 s62, s72, exec_lo
	s_delay_alu instid0(SALU_CYCLE_1)
	s_or_b32 s62, s13, s62
	s_and_not1_b32 exec_lo, exec_lo, s61
	s_cbranch_execz .LBB6_290
.LBB6_286:                              ;   Parent Loop BB6_47 Depth=1
                                        ;     Parent Loop BB6_275 Depth=2
                                        ;       Parent Loop BB6_278 Depth=3
                                        ; =>      This Inner Loop Header: Depth=4
	s_sleep 1
	s_wait_loadcnt_dscnt 0x0
	flat_load_b64 v[28:29], v[20:21] scope:SCOPE_SYS
	s_or_b32 s72, s72, exec_lo
	s_or_b32 s63, s63, exec_lo
                                        ; implicit-def: $vgpr9
	s_wait_xcnt 0x0
	s_and_saveexec_b32 s74, vcc_lo
	s_cbranch_execz .LBB6_285
; %bb.287:                              ;   in Loop: Header=BB6_286 Depth=4
	s_cmp_lt_i32 s73, 0x270f
	s_mov_b32 s75, -1
	s_cselect_b32 s77, -1, 0
	s_cmp_gt_i32 s73, 0x270e
	s_cbranch_scc0 .LBB6_289
; %bb.288:                              ;   in Loop: Header=BB6_286 Depth=4
	s_trap 2
	ds_load_b64 v[16:17], v0
	s_and_not1_b32 s73, s77, exec_lo
	s_mov_b32 s76, 0
	s_wait_storecnt 0x0
	s_wait_loadcnt_dscnt 0x0
	flat_load_b32 v9, v[16:17] scope:SCOPE_SYS
	s_wait_loadcnt_dscnt 0x0
	global_inv scope:SCOPE_SYS
	v_cmp_eq_u32_e64 s13, 0, v9
	s_and_b32 s13, s13, exec_lo
	s_delay_alu instid0(SALU_CYCLE_1)
	s_or_b32 s77, s73, s13
	s_mov_b32 s73, 0
	s_and_saveexec_b32 s78, s77
	s_cbranch_execz .LBB6_284
	s_branch .LBB6_283
.LBB6_289:                              ;   in Loop: Header=BB6_286 Depth=4
	s_add_co_i32 s73, s73, 1
	s_mov_b32 s76, -1
                                        ; implicit-def: $vgpr9
	s_and_saveexec_b32 s78, s77
	s_cbranch_execz .LBB6_284
	s_branch .LBB6_283
.LBB6_290:                              ;   in Loop: Header=BB6_278 Depth=3
	s_or_b32 exec_lo, exec_lo, s61
	s_xor_b32 s13, s62, -1
	s_delay_alu instid0(SALU_CYCLE_1) | instskip(NEXT) | instid1(SALU_CYCLE_1)
	s_and_saveexec_b32 s61, s13
	s_xor_b32 s13, exec_lo, s61
	s_cbranch_execz .LBB6_292
; %bb.291:                              ;   in Loop: Header=BB6_278 Depth=3
	v_or_b32_e32 v30, 64, v30
	s_wait_storecnt 0x0
	s_wait_loadcnt_dscnt 0x0
	ds_store_b32 v0, v9
	s_trap 2
.LBB6_292:                              ;   in Loop: Header=BB6_278 Depth=3
	s_or_b32 exec_lo, exec_lo, s13
.LBB6_293:                              ;   in Loop: Header=BB6_278 Depth=3
	s_delay_alu instid0(SALU_CYCLE_1) | instskip(SKIP_3) | instid1(VALU_DEP_1)
	s_or_b32 exec_lo, exec_lo, s60
	v_and_b32_e32 v9, 0x108, v30
	s_mov_b32 s13, exec_lo
	;;#ASMSTART
	s_wakeup
	;;#ASMEND
                                        ; implicit-def: $vgpr114_vgpr115
	v_cmpx_ne_u32_e32 0x108, v9
	s_xor_b32 s13, exec_lo, s13
; %bb.294:                              ;   in Loop: Header=BB6_278 Depth=3
	v_dual_mov_b32 v115, v3 :: v_dual_bitop2_b32 v114, 7, v96 bitop3:0x40
                                        ; implicit-def: $vgpr96_vgpr97
; %bb.295:                              ;   in Loop: Header=BB6_278 Depth=3
	s_and_not1_saveexec_b32 s13, s13
	s_cbranch_execz .LBB6_297
; %bb.296:                              ;   in Loop: Header=BB6_278 Depth=3
	v_dual_mov_b32 v115, v3 :: v_dual_bitop2_b32 v114, 7, v96 bitop3:0x40
	v_ashrrev_i32_e32 v9, 31, v8
	s_delay_alu instid0(VALU_DEP_2) | instskip(NEXT) | instid1(VALU_DEP_2)
	v_mad_nc_u64_u32 v[16:17], v114, 24, v[6:7]
	v_lshlrev_b64_e32 v[18:19], 2, v[8:9]
	flat_store_b64 v[16:17], v[18:19] offset:8
.LBB6_297:                              ;   in Loop: Header=BB6_278 Depth=3
	s_wait_xcnt 0x0
	s_or_b32 exec_lo, exec_lo, s13
	v_and_b32_e32 v9, 0x100, v30
	s_mov_b32 s13, -1
	s_mov_b32 s60, exec_lo
                                        ; implicit-def: $vgpr96_vgpr97
	s_delay_alu instid0(VALU_DEP_1)
	v_cmpx_ne_u32_e32 0, v9
	s_cbranch_execz .LBB6_301
; %bb.298:                              ;   in Loop: Header=BB6_278 Depth=3
	v_mad_nc_u64_u32 v[116:117], v114, 24, v[6:7]
	s_mov_b32 s61, exec_lo
                                        ; implicit-def: $vgpr96_vgpr97
	s_delay_alu instid0(VALU_DEP_1)
	v_mad_u32 v117, v115, 24, v117
	flat_load_b32 v9, v[116:117]
	s_wait_loadcnt_dscnt 0x0
	v_cmp_ne_u32_e32 vcc_lo, 1, v9
	s_wait_xcnt 0x0
	v_cmpx_eq_u32_e32 1, v9
	s_cbranch_execz .LBB6_300
; %bb.299:                              ;   in Loop: Header=BB6_278 Depth=3
	flat_load_b32 v16, v[116:117] offset:4 scope:SCOPE_SYS
	s_wait_loadcnt_dscnt 0x0
	v_ashrrev_i32_e32 v17, 31, v16
	s_delay_alu instid0(VALU_DEP_1)
	v_lshrrev_b64 v[96:97], 2, v[16:17]
.LBB6_300:                              ;   in Loop: Header=BB6_278 Depth=3
	s_wait_xcnt 0x0
	s_or_b32 exec_lo, exec_lo, s61
	s_delay_alu instid0(SALU_CYCLE_1)
	s_or_not1_b32 s13, vcc_lo, exec_lo
.LBB6_301:                              ;   in Loop: Header=BB6_278 Depth=3
	s_or_b32 exec_lo, exec_lo, s60
	s_and_saveexec_b32 s60, s13
; %bb.302:                              ;   in Loop: Header=BB6_278 Depth=3
	v_mul_u64_e32 v[96:97], v[114:115], v[22:23]
; %bb.303:                              ;   in Loop: Header=BB6_278 Depth=3
	s_or_b32 exec_lo, exec_lo, s60
	v_cmp_eq_u32_e32 vcc_lo, 0, v2
	v_and_b32_e32 v9, 0x2000, v30
	s_delay_alu instid0(VALU_DEP_3) | instskip(SKIP_2) | instid1(VALU_DEP_1)
	v_lshl_add_u64 v[16:17], v[96:97], 2, v[24:25]
	s_mov_b32 s13, exec_lo
	v_cndmask_b32_e32 v2, 0xc8, v60, vcc_lo
	v_add_nc_u32_e32 v2, v0, v2
	ds_store_b64 v2, v[16:17] offset:584
	v_cmpx_ne_u32_e32 0, v9
	s_cbranch_execz .LBB6_305
; %bb.304:                              ;   in Loop: Header=BB6_278 Depth=3
	ds_load_b64 v[16:17], v0 offset:872
	s_wait_dscnt 0x0
	v_add_nc_u64_e32 v[16:17], 1, v[16:17]
	ds_store_b64 v0, v[16:17] offset:872
.LBB6_305:                              ;   in Loop: Header=BB6_278 Depth=3
	s_or_b32 exec_lo, exec_lo, s13
	v_mov_b64_e32 v[96:97], v[112:113]
.LBB6_306:                              ;   in Loop: Header=BB6_278 Depth=3
	s_or_b32 exec_lo, exec_lo, s41
	s_and_saveexec_b32 s13, s2
	s_cbranch_execz .LBB6_325
; %bb.307:                              ;   in Loop: Header=BB6_278 Depth=3
	s_and_saveexec_b32 s41, s3
	s_delay_alu instid0(SALU_CYCLE_1)
	s_xor_b32 s41, exec_lo, s41
	s_cbranch_execz .LBB6_322
; %bb.308:                              ;   in Loop: Header=BB6_278 Depth=3
	s_and_saveexec_b32 s60, s6
	s_cbranch_execz .LBB6_321
; %bb.309:                              ;   in Loop: Header=BB6_278 Depth=3
	s_mov_b32 s62, exec_lo
	s_mov_b32 s61, exec_lo
	v_mbcnt_lo_u32_b32 v2, s62, 0
	global_wb scope:SCOPE_DEV
	s_wait_storecnt 0x0
	s_wait_loadcnt_dscnt 0x0
	global_inv scope:SCOPE_DEV
	v_cmpx_eq_u32_e32 0, v2
	s_cbranch_execz .LBB6_311
; %bb.310:                              ;   in Loop: Header=BB6_278 Depth=3
	s_bcnt1_i32_b32 s62, s62
	s_delay_alu instid0(SALU_CYCLE_1)
	v_mov_b32_e32 v2, s62
	s_wait_loadcnt 0x0
	ds_add_u64 v0, v[2:3]
	s_trap 2
.LBB6_311:                              ;   in Loop: Header=BB6_278 Depth=3
	s_or_b32 exec_lo, exec_lo, s61
	s_trap 2
	ds_load_b64 v[16:17], v0
	s_wait_dscnt 0x0
	v_add_nc_u64_e32 v[12:13], v[12:13], v[32:33]
	s_mov_b32 s61, exec_lo
	s_delay_alu instid0(VALU_DEP_1)
	v_cmpx_lt_u64_e64 v[16:17], v[12:13]
	s_cbranch_execz .LBB6_320
; %bb.312:                              ;   in Loop: Header=BB6_278 Depth=3
	s_mov_b32 s62, 0
	s_mov_b32 s73, 0
                                        ; implicit-def: $sgpr63
                                        ; implicit-def: $sgpr72
	s_branch .LBB6_314
.LBB6_313:                              ;   in Loop: Header=BB6_314 Depth=4
	s_or_b32 exec_lo, exec_lo, s75
	s_delay_alu instid0(SALU_CYCLE_1) | instskip(NEXT) | instid1(SALU_CYCLE_1)
	s_and_b32 s74, exec_lo, s76
	s_or_b32 s62, s74, s62
	s_and_not1_b32 s63, s63, exec_lo
	s_and_b32 s74, s72, exec_lo
	s_delay_alu instid0(SALU_CYCLE_1)
	s_or_b32 s63, s63, s74
	s_and_not1_b32 exec_lo, exec_lo, s62
	s_cbranch_execz .LBB6_318
.LBB6_314:                              ;   Parent Loop BB6_47 Depth=1
                                        ;     Parent Loop BB6_275 Depth=2
                                        ;       Parent Loop BB6_278 Depth=3
                                        ; =>      This Inner Loop Header: Depth=4
	s_add_co_i32 s73, s73, 1
	s_delay_alu instid0(SALU_CYCLE_1) | instskip(SKIP_1) | instid1(SALU_CYCLE_1)
	s_cmp_lg_u32 s73, 0x2710
	s_cselect_b32 s74, -1, 0
	s_and_b32 vcc_lo, exec_lo, s74
	s_cbranch_vccz .LBB6_316
; %bb.315:                              ;   in Loop: Header=BB6_314 Depth=4
	s_mov_b32 s76, -1
	s_or_b32 s72, s72, exec_lo
	s_and_saveexec_b32 s75, s74
	s_cbranch_execz .LBB6_313
	s_branch .LBB6_317
.LBB6_316:                              ;   in Loop: Header=BB6_314 Depth=4
	s_trap 2
	ds_load_b64 v[16:17], v0
	s_and_not1_b32 s74, s74, exec_lo
	s_mov_b32 s73, 0
	s_wait_loadcnt_dscnt 0x0
	flat_load_b32 v2, v[16:17] scope:SCOPE_SYS
	s_wait_loadcnt_dscnt 0x0
	global_inv scope:SCOPE_SYS
	v_cmp_eq_u32_e32 vcc_lo, 0, v2
	s_and_b32 s75, vcc_lo, exec_lo
	s_delay_alu instid0(SALU_CYCLE_1)
	s_or_b32 s74, s74, s75
	s_mov_b32 s76, -1
	s_or_b32 s72, s72, exec_lo
	s_and_saveexec_b32 s75, s74
	s_cbranch_execz .LBB6_313
.LBB6_317:                              ;   in Loop: Header=BB6_314 Depth=4
	s_sleep 1
	s_trap 2
	ds_load_b64 v[16:17], v0
	s_wait_dscnt 0x0
	s_and_not1_b32 s72, s72, exec_lo
	v_cmp_ge_u64_e32 vcc_lo, v[16:17], v[12:13]
	s_or_not1_b32 s76, vcc_lo, exec_lo
	s_branch .LBB6_313
.LBB6_318:                              ;   in Loop: Header=BB6_278 Depth=3
	s_or_b32 exec_lo, exec_lo, s62
	s_and_saveexec_b32 s62, s63
	s_delay_alu instid0(SALU_CYCLE_1)
	s_xor_b32 s62, exec_lo, s62
	s_cbranch_execz .LBB6_320
; %bb.319:                              ;   in Loop: Header=BB6_278 Depth=3
	ds_store_b32 v0, v59
	s_trap 2
.LBB6_320:                              ;   in Loop: Header=BB6_278 Depth=3
	s_or_b32 exec_lo, exec_lo, s61
	;;#ASMSTART
	s_wakeup
	;;#ASMEND
.LBB6_321:                              ;   in Loop: Header=BB6_278 Depth=3
	s_or_b32 exec_lo, exec_lo, s60
.LBB6_322:                              ;   in Loop: Header=BB6_278 Depth=3
	s_and_not1_saveexec_b32 s41, s41
	s_cbranch_execz .LBB6_324
; %bb.323:                              ;   in Loop: Header=BB6_278 Depth=3
	global_wb scope:SCOPE_DEV
	s_wait_storecnt 0x0
	s_wait_loadcnt_dscnt 0x0
	global_inv scope:SCOPE_DEV
	s_barrier_signal -1
	s_barrier_wait -1
.LBB6_324:                              ;   in Loop: Header=BB6_278 Depth=3
	s_or_b32 exec_lo, exec_lo, s41
.LBB6_325:                              ;   in Loop: Header=BB6_278 Depth=3
	s_delay_alu instid0(SALU_CYCLE_1) | instskip(SKIP_4) | instid1(VALU_DEP_1)
	s_or_b32 exec_lo, exec_lo, s13
	s_trap 2
	ds_load_b32 v9, v0
	v_and_b32_e32 v2, 0x4000, v30
	s_xor_b32 s13, s1, -1
	v_cmp_ne_u32_e32 vcc_lo, 0, v2
	s_and_b32 s41, s13, vcc_lo
	s_delay_alu instid0(SALU_CYCLE_1)
	s_and_saveexec_b32 s13, s41
	s_cbranch_execz .LBB6_344
; %bb.326:                              ;   in Loop: Header=BB6_278 Depth=3
	s_and_saveexec_b32 s41, s3
	s_delay_alu instid0(SALU_CYCLE_1)
	s_xor_b32 s41, exec_lo, s41
	s_cbranch_execz .LBB6_341
; %bb.327:                              ;   in Loop: Header=BB6_278 Depth=3
	s_and_saveexec_b32 s60, s6
	s_cbranch_execz .LBB6_340
; %bb.328:                              ;   in Loop: Header=BB6_278 Depth=3
	s_mov_b32 s62, exec_lo
	s_mov_b32 s61, exec_lo
	v_mbcnt_lo_u32_b32 v2, s62, 0
	global_wb scope:SCOPE_DEV
	s_wait_storecnt 0x0
	s_wait_loadcnt_dscnt 0x0
	global_inv scope:SCOPE_DEV
	v_cmpx_eq_u32_e32 0, v2
	s_cbranch_execz .LBB6_330
; %bb.329:                              ;   in Loop: Header=BB6_278 Depth=3
	s_bcnt1_i32_b32 s62, s62
	s_delay_alu instid0(SALU_CYCLE_1)
	v_mov_b32_e32 v2, s62
	s_wait_loadcnt 0x0
	ds_add_u64 v0, v[2:3]
	s_trap 2
.LBB6_330:                              ;   in Loop: Header=BB6_278 Depth=3
	s_or_b32 exec_lo, exec_lo, s61
	s_trap 2
	ds_load_b64 v[16:17], v0
	s_wait_dscnt 0x0
	v_add_nc_u64_e32 v[12:13], v[12:13], v[32:33]
	s_mov_b32 s61, exec_lo
	s_delay_alu instid0(VALU_DEP_1)
	v_cmpx_lt_u64_e64 v[16:17], v[12:13]
	s_cbranch_execz .LBB6_339
; %bb.331:                              ;   in Loop: Header=BB6_278 Depth=3
	s_mov_b32 s62, 0
	s_mov_b32 s73, 0
                                        ; implicit-def: $sgpr63
                                        ; implicit-def: $sgpr72
	s_branch .LBB6_333
.LBB6_332:                              ;   in Loop: Header=BB6_333 Depth=4
	s_or_b32 exec_lo, exec_lo, s75
	s_delay_alu instid0(SALU_CYCLE_1) | instskip(NEXT) | instid1(SALU_CYCLE_1)
	s_and_b32 s74, exec_lo, s76
	s_or_b32 s62, s74, s62
	s_and_not1_b32 s63, s63, exec_lo
	s_and_b32 s74, s72, exec_lo
	s_delay_alu instid0(SALU_CYCLE_1)
	s_or_b32 s63, s63, s74
	s_and_not1_b32 exec_lo, exec_lo, s62
	s_cbranch_execz .LBB6_337
.LBB6_333:                              ;   Parent Loop BB6_47 Depth=1
                                        ;     Parent Loop BB6_275 Depth=2
                                        ;       Parent Loop BB6_278 Depth=3
                                        ; =>      This Inner Loop Header: Depth=4
	s_add_co_i32 s73, s73, 1
	s_delay_alu instid0(SALU_CYCLE_1) | instskip(SKIP_1) | instid1(SALU_CYCLE_1)
	s_cmp_lg_u32 s73, 0x2710
	s_cselect_b32 s74, -1, 0
	s_and_b32 vcc_lo, exec_lo, s74
	s_cbranch_vccz .LBB6_335
; %bb.334:                              ;   in Loop: Header=BB6_333 Depth=4
	s_mov_b32 s76, -1
	s_or_b32 s72, s72, exec_lo
	s_and_saveexec_b32 s75, s74
	s_cbranch_execz .LBB6_332
	s_branch .LBB6_336
.LBB6_335:                              ;   in Loop: Header=BB6_333 Depth=4
	s_trap 2
	ds_load_b64 v[16:17], v0
	s_and_not1_b32 s74, s74, exec_lo
	s_mov_b32 s73, 0
	s_wait_loadcnt_dscnt 0x0
	flat_load_b32 v2, v[16:17] scope:SCOPE_SYS
	s_wait_loadcnt_dscnt 0x0
	global_inv scope:SCOPE_SYS
	v_cmp_eq_u32_e32 vcc_lo, 0, v2
	s_and_b32 s75, vcc_lo, exec_lo
	s_delay_alu instid0(SALU_CYCLE_1)
	s_or_b32 s74, s74, s75
	s_mov_b32 s76, -1
	s_or_b32 s72, s72, exec_lo
	s_and_saveexec_b32 s75, s74
	s_cbranch_execz .LBB6_332
.LBB6_336:                              ;   in Loop: Header=BB6_333 Depth=4
	s_sleep 1
	s_trap 2
	ds_load_b64 v[16:17], v0
	s_wait_dscnt 0x0
	s_and_not1_b32 s72, s72, exec_lo
	v_cmp_ge_u64_e32 vcc_lo, v[16:17], v[12:13]
	s_or_not1_b32 s76, vcc_lo, exec_lo
	s_branch .LBB6_332
.LBB6_337:                              ;   in Loop: Header=BB6_278 Depth=3
	s_or_b32 exec_lo, exec_lo, s62
	s_and_saveexec_b32 s62, s63
	s_delay_alu instid0(SALU_CYCLE_1)
	s_xor_b32 s62, exec_lo, s62
	s_cbranch_execz .LBB6_339
; %bb.338:                              ;   in Loop: Header=BB6_278 Depth=3
	ds_store_b32 v0, v59
	s_trap 2
.LBB6_339:                              ;   in Loop: Header=BB6_278 Depth=3
	s_or_b32 exec_lo, exec_lo, s61
	;;#ASMSTART
	s_wakeup
	;;#ASMEND
.LBB6_340:                              ;   in Loop: Header=BB6_278 Depth=3
	s_or_b32 exec_lo, exec_lo, s60
.LBB6_341:                              ;   in Loop: Header=BB6_278 Depth=3
	s_and_not1_saveexec_b32 s41, s41
	s_cbranch_execz .LBB6_343
; %bb.342:                              ;   in Loop: Header=BB6_278 Depth=3
	global_wb scope:SCOPE_DEV
	s_wait_storecnt 0x0
	s_wait_loadcnt_dscnt 0x0
	global_inv scope:SCOPE_DEV
	s_barrier_signal -1
	s_barrier_wait -1
.LBB6_343:                              ;   in Loop: Header=BB6_278 Depth=3
	s_or_b32 exec_lo, exec_lo, s41
.LBB6_344:                              ;   in Loop: Header=BB6_278 Depth=3
	s_delay_alu instid0(SALU_CYCLE_1)
	s_or_b32 exec_lo, exec_lo, s13
	s_trap 2
	ds_load_b64 v[112:113], v0
	s_wait_dscnt 0x0
	v_cmp_eq_u64_e32 vcc_lo, 0, v[112:113]
	s_cbranch_vccnz .LBB6_352
; %bb.345:                              ;   in Loop: Header=BB6_278 Depth=3
	s_trap 2
	ds_load_b64 v[114:115], v0
	s_wait_dscnt 0x0
	v_cmp_eq_u64_e32 vcc_lo, 0, v[114:115]
	s_cbranch_vccnz .LBB6_352
; %bb.346:                              ;   in Loop: Header=BB6_278 Depth=3
	s_mov_b32 s13, -1
	s_and_saveexec_b32 s41, s12
	s_cbranch_execz .LBB6_348
; %bb.347:                              ;   in Loop: Header=BB6_278 Depth=3
	ds_load_b32 v2, v0 offset:720
	s_wait_dscnt 0x0
	v_and_b32_e32 v2, 15, v2
	s_delay_alu instid0(VALU_DEP_1)
	v_cmp_eq_u32_e32 vcc_lo, 0, v2
	s_or_not1_b32 s13, vcc_lo, exec_lo
.LBB6_348:                              ;   in Loop: Header=BB6_278 Depth=3
	s_or_b32 exec_lo, exec_lo, s41
	s_and_saveexec_b32 s41, s11
	s_cbranch_execz .LBB6_350
; %bb.349:                              ;   in Loop: Header=BB6_278 Depth=3
	ds_load_b32 v2, v0 offset:784
	s_wait_dscnt 0x0
	v_and_b32_e32 v2, 15, v2
	s_delay_alu instid0(VALU_DEP_1) | instskip(SKIP_3) | instid1(SALU_CYCLE_1)
	v_cmp_eq_u32_e32 vcc_lo, 0, v2
	s_and_b32 s60, s13, vcc_lo
	s_and_not1_b32 s13, s13, exec_lo
	s_and_b32 s60, s60, exec_lo
	s_or_b32 s13, s13, s60
.LBB6_350:                              ;   in Loop: Header=BB6_278 Depth=3
	s_or_b32 exec_lo, exec_lo, s41
	v_cmp_eq_u32_e32 vcc_lo, 0, v9
	s_xor_b32 s13, s13, -1
	s_mov_b32 s60, -1
	v_cndmask_b32_e64 v11, 0, 1, s13
	v_cndmask_b32_e32 v2, 0, v8, vcc_lo
	s_delay_alu instid0(VALU_DEP_2) | instskip(NEXT) | instid1(VALU_DEP_2)
	v_cmp_ne_u32_e32 vcc_lo, 0, v11
	v_dual_mov_b32 v11, 0 :: v_dual_lshlrev_b32 v9, 2, v2
	s_cbranch_vccz .LBB6_357
; %bb.351:                              ;   in Loop: Header=BB6_278 Depth=3
	v_dual_mov_b32 v43, v0 :: v_dual_mov_b32 v116, v62
	s_and_saveexec_b32 s13, s60
	s_cbranch_execnz .LBB6_370
	s_branch .LBB6_378
.LBB6_352:                              ;   in Loop: Header=BB6_278 Depth=3
	s_mov_b32 s13, 0
	s_and_saveexec_b32 s41, s2
	s_cbranch_execnz .LBB6_379
.LBB6_353:                              ;   in Loop: Header=BB6_278 Depth=3
	s_or_b32 exec_lo, exec_lo, s41
                                        ; implicit-def: $vgpr2
	s_and_saveexec_b32 s41, s10
	s_delay_alu instid0(SALU_CYCLE_1)
	s_xor_b32 s41, exec_lo, s41
	s_cbranch_execz .LBB6_397
.LBB6_354:                              ;   in Loop: Header=BB6_278 Depth=3
	v_and_b32_e32 v2, 16, v30
	s_delay_alu instid0(VALU_DEP_1) | instskip(SKIP_2) | instid1(SALU_CYCLE_1)
	v_cmp_ne_u32_e32 vcc_lo, 0, v2
	v_and_b32_e32 v2, 16, v30
	s_and_b32 s60, vcc_lo, s13
	s_and_saveexec_b32 s13, s60
	s_cbranch_execz .LBB6_356
; %bb.355:                              ;   in Loop: Header=BB6_278 Depth=3
	v_mov_b32_e32 v2, 1
	global_wb scope:SCOPE_SYS
	s_wait_storecnt 0x0
	s_wait_loadcnt_dscnt 0x0
	global_inv scope:SCOPE_SYS
.LBB6_356:                              ;   in Loop: Header=BB6_278 Depth=3
	s_or_b32 exec_lo, exec_lo, s13
	s_and_not1_saveexec_b32 s13, s41
	s_cbranch_execz .LBB6_416
	s_branch .LBB6_398
.LBB6_357:                              ;   in Loop: Header=BB6_278 Depth=3
	s_delay_alu instid0(VALU_DEP_1) | instskip(SKIP_1) | instid1(VALU_DEP_1)
	v_ashrrev_i32_e32 v11, 31, v9
	s_mov_b32 s13, exec_lo
	v_lshrrev_b32_e32 v11, 21, v11
	s_delay_alu instid0(VALU_DEP_1) | instskip(NEXT) | instid1(VALU_DEP_1)
	v_add_nc_u32_e32 v11, v9, v11
	v_ashrrev_i32_e32 v11, 11, v11
	s_delay_alu instid0(VALU_DEP_1) | instskip(NEXT) | instid1(VALU_DEP_1)
	v_sub_nc_u32_e32 v45, v11, v62
	v_cmpx_lt_i32_e32 0, v45
	s_cbranch_execz .LBB6_361
; %bb.358:                              ;   in Loop: Header=BB6_278 Depth=3
	s_trap 2
	ds_load_b64 v[16:17], v0
	v_add_nc_u64_e32 v[116:117], v[112:113], v[84:85]
	v_add_nc_u64_e32 v[40:41], v[114:115], v[84:85]
	s_mov_b32 s41, 0
	s_wait_dscnt 0x0
	v_add_nc_u64_e32 v[118:119], v[16:17], v[84:85]
.LBB6_359:                              ;   Parent Loop BB6_47 Depth=1
                                        ;     Parent Loop BB6_275 Depth=2
                                        ;       Parent Loop BB6_278 Depth=3
                                        ; =>      This Inner Loop Header: Depth=4
	global_load_b128 v[16:19], v[118:119], off th:TH_LOAD_NT
	s_clause 0x1
	global_load_b128 v[36:39], v[116:117], off th:TH_LOAD_NT
	global_load_b128 v[72:75], v[116:117], off offset:512 th:TH_LOAD_NT
	s_clause 0x1
	global_load_b128 v[76:79], v[118:119], off offset:512 th:TH_LOAD_NT
	global_load_b128 v[88:91], v[118:119], off offset:1024 th:TH_LOAD_NT
	s_clause 0x1
	global_load_b128 v[92:95], v[116:117], off offset:1024 th:TH_LOAD_NT
	global_load_b128 v[104:107], v[116:117], off offset:1536 th:TH_LOAD_NT
	;; [unrolled: 1-line block ×3, first 2 shown]
	v_sub_nc_u32_e32 v45, v45, v32
	s_wait_xcnt 0x1
	v_add_nc_u64_e32 v[116:117], v[116:117], v[64:65]
	s_wait_xcnt 0x0
	v_add_nc_u64_e32 v[118:119], v[118:119], v[64:65]
	s_wait_loadcnt 0x6
	v_dual_mul_f32 v16, v36, v16 :: v_dual_mul_f32 v17, v37, v17
	v_dual_mul_f32 v18, v38, v18 :: v_dual_mul_f32 v19, v39, v19
	s_wait_loadcnt 0x4
	v_dual_mul_f32 v36, v72, v76 :: v_dual_mul_f32 v37, v73, v77
	v_dual_mul_f32 v38, v74, v78 :: v_dual_mul_f32 v39, v75, v79
	;; [unrolled: 3-line block ×4, first 2 shown]
	v_cmp_gt_i32_e32 vcc_lo, 1, v45
	s_clause 0x3
	global_store_b128 v[40:41], v[16:19], off th:TH_STORE_NT
	global_store_b128 v[40:41], v[36:39], off offset:512 th:TH_STORE_NT
	global_store_b128 v[40:41], v[72:75], off offset:1024 th:TH_STORE_NT
	;; [unrolled: 1-line block ×3, first 2 shown]
	s_wait_xcnt 0x0
	v_add_nc_u64_e32 v[40:41], v[40:41], v[64:65]
	s_or_b32 s41, vcc_lo, s41
	s_delay_alu instid0(SALU_CYCLE_1)
	s_and_not1_b32 exec_lo, exec_lo, s41
	s_cbranch_execnz .LBB6_359
; %bb.360:                              ;   in Loop: Header=BB6_278 Depth=3
	s_or_b32 exec_lo, exec_lo, s41
.LBB6_361:                              ;   in Loop: Header=BB6_278 Depth=3
	s_delay_alu instid0(SALU_CYCLE_1) | instskip(SKIP_3) | instid1(VALU_DEP_1)
	s_or_b32 exec_lo, exec_lo, s13
	v_dual_mov_b32 v11, 0 :: v_dual_lshlrev_b32 v44, 11, v11
	s_mov_b32 s60, 0
	s_mov_b32 s41, exec_lo
                                        ; implicit-def: $vgpr43
                                        ; implicit-def: $vgpr116
	v_cmpx_ne_u32_e64 v9, v44
	s_cbranch_execz .LBB6_369
; %bb.362:                              ;   in Loop: Header=BB6_278 Depth=3
	v_dual_lshlrev_b32 v11, 5, v45 :: v_dual_sub_nc_u32 v17, v9, v44
	s_mov_b32 s60, exec_lo
	s_delay_alu instid0(VALU_DEP_1) | instskip(NEXT) | instid1(VALU_DEP_1)
	v_dual_sub_nc_u32 v11, v63, v11 :: v_dual_ashrrev_i32 v18, 31, v17
	v_dual_ashrrev_i32 v16, 31, v11 :: v_dual_lshrrev_b32 v18, 23, v18
	s_delay_alu instid0(VALU_DEP_1) | instskip(NEXT) | instid1(VALU_DEP_1)
	v_lshrrev_b32_e32 v16, 27, v16
	v_add_nc_u32_e32 v16, v11, v16
	s_delay_alu instid0(VALU_DEP_1) | instskip(NEXT) | instid1(VALU_DEP_1)
	v_and_b32_e32 v19, 0xffffffe0, v16
	v_dual_add_nc_u32 v18, v17, v18 :: v_dual_sub_nc_u32 v46, v11, v19
	s_delay_alu instid0(VALU_DEP_1) | instskip(SKIP_1) | instid1(VALU_DEP_2)
	v_and_b32_e32 v45, 0xfffffe00, v18
	v_dual_ashrrev_i32 v16, 5, v16 :: v_dual_ashrrev_i32 v18, 9, v18
	v_dual_lshlrev_b32 v11, 4, v46 :: v_dual_sub_nc_u32 v47, v17, v45
	s_delay_alu instid0(VALU_DEP_1) | instskip(NEXT) | instid1(VALU_DEP_2)
	v_lshl_add_u32 v116, v16, 9, v11
	v_cmp_lt_i32_e32 vcc_lo, 15, v47
	s_delay_alu instid0(VALU_DEP_2) | instskip(SKIP_1) | instid1(VALU_DEP_1)
	v_sub_nc_u32_e32 v11, v17, v116
	v_add_co_ci_u32_e64 v18, null, 0, v18, vcc_lo
	v_sub_nc_u32_e32 v56, v18, v16
	s_delay_alu instid0(VALU_DEP_3)
	v_cmpx_lt_i32_e32 15, v11
	s_cbranch_execz .LBB6_366
; %bb.363:                              ;   in Loop: Header=BB6_278 Depth=3
	s_trap 2
	ds_load_b64 v[16:17], v0
	v_add_nc_u32_e32 v18, v116, v44
	s_mov_b32 s61, 0
	s_delay_alu instid0(VALU_DEP_1) | instskip(NEXT) | instid1(VALU_DEP_1)
	v_ashrrev_i32_e32 v19, 31, v18
	v_add_nc_u64_e32 v[116:117], v[18:19], v[112:113]
	v_add_nc_u64_e32 v[40:41], v[18:19], v[114:115]
	s_wait_dscnt 0x0
	v_add_nc_u64_e32 v[118:119], v[16:17], v[18:19]
.LBB6_364:                              ;   Parent Loop BB6_47 Depth=1
                                        ;     Parent Loop BB6_275 Depth=2
                                        ;       Parent Loop BB6_278 Depth=3
                                        ; =>      This Inner Loop Header: Depth=4
	global_load_b128 v[16:19], v[116:117], off th:TH_LOAD_NT
	global_load_b128 v[36:39], v[118:119], off th:TH_LOAD_NT
	v_sub_nc_u32_e32 v11, v11, v50
	s_wait_xcnt 0x1
	v_add_nc_u64_e32 v[116:117], v[116:117], v[50:51]
	s_wait_xcnt 0x0
	v_add_nc_u64_e32 v[118:119], v[118:119], v[50:51]
	s_wait_loadcnt 0x0
	v_dual_mul_f32 v19, v19, v39 :: v_dual_sub_nc_u32 v56, v56, v32
	v_dual_mul_f32 v16, v16, v36 :: v_dual_mul_f32 v17, v17, v37
	v_mul_f32_e32 v18, v18, v38
	v_cmp_gt_i32_e64 s13, 16, v11
	global_store_b128 v[40:41], v[16:19], off th:TH_STORE_NT
	s_wait_xcnt 0x0
	v_add_nc_u64_e32 v[40:41], v[40:41], v[50:51]
	s_or_b32 s61, s13, s61
	s_delay_alu instid0(SALU_CYCLE_1)
	s_and_not1_b32 exec_lo, exec_lo, s61
	s_cbranch_execnz .LBB6_364
; %bb.365:                              ;   in Loop: Header=BB6_278 Depth=3
	s_or_b32 exec_lo, exec_lo, s61
.LBB6_366:                              ;   in Loop: Header=BB6_278 Depth=3
	s_delay_alu instid0(SALU_CYCLE_1) | instskip(SKIP_3) | instid1(VALU_DEP_1)
	s_or_b32 exec_lo, exec_lo, s60
	v_dual_mov_b32 v11, 0 :: v_dual_bitop2_b32 v117, 12, v9 bitop3:0x40
	s_mov_b32 s60, 0
	s_mov_b32 s61, exec_lo
                                        ; implicit-def: $vgpr43
                                        ; implicit-def: $vgpr116
	v_cndmask_b32_e32 v9, v47, v117, vcc_lo
	s_delay_alu instid0(VALU_DEP_1)
	v_cmpx_ne_u32_e32 0, v9
	s_cbranch_execz .LBB6_368
; %bb.367:                              ;   in Loop: Header=BB6_278 Depth=3
	v_cmp_lt_i32_e64 s13, 0, v56
	s_mov_b32 s60, exec_lo
	v_dual_sub_nc_u32 v16, v47, v117 :: v_dual_cndmask_b32 v11, 0, v32, s13
	s_delay_alu instid0(VALU_DEP_1) | instskip(NEXT) | instid1(VALU_DEP_2)
	v_cndmask_b32_e32 v16, 0, v16, vcc_lo
	v_sub_nc_u32_e32 v11, v11, v56
	s_delay_alu instid0(VALU_DEP_1) | instskip(NEXT) | instid1(VALU_DEP_1)
	v_lshl_add_u32 v43, v11, 5, v46
	v_ashrrev_i32_e32 v11, 31, v43
	s_delay_alu instid0(VALU_DEP_1) | instskip(NEXT) | instid1(VALU_DEP_1)
	v_lshrrev_b32_e32 v11, 27, v11
	v_add_nc_u32_e32 v17, v43, v11
	v_add3_u32 v11, v45, v44, v16
	s_delay_alu instid0(VALU_DEP_2)
	v_ashrrev_i32_e32 v116, 5, v17
.LBB6_368:                              ;   in Loop: Header=BB6_278 Depth=3
	s_or_b32 exec_lo, exec_lo, s61
	s_delay_alu instid0(SALU_CYCLE_1)
	s_and_b32 s60, s60, exec_lo
.LBB6_369:                              ;   in Loop: Header=BB6_278 Depth=3
	s_or_b32 exec_lo, exec_lo, s41
	s_and_saveexec_b32 s13, s60
	s_cbranch_execz .LBB6_378
.LBB6_370:                              ;   in Loop: Header=BB6_278 Depth=3
	v_ashrrev_i32_e32 v16, 31, v9
	s_mov_b32 s41, exec_lo
	s_delay_alu instid0(VALU_DEP_1) | instskip(NEXT) | instid1(VALU_DEP_1)
	v_lshrrev_b32_e32 v16, 22, v16
	v_add_nc_u32_e32 v16, v9, v16
	s_delay_alu instid0(VALU_DEP_1) | instskip(NEXT) | instid1(VALU_DEP_1)
	v_dual_ashrrev_i32 v46, 10, v16 :: v_dual_ashrrev_i32 v16, 31, v43
	v_sub_nc_u32_e32 v44, v46, v116
	s_delay_alu instid0(VALU_DEP_2) | instskip(NEXT) | instid1(VALU_DEP_2)
	v_lshrrev_b32_e32 v45, 27, v16
	v_cmpx_lt_i32_e32 0, v44
	s_cbranch_execz .LBB6_374
; %bb.371:                              ;   in Loop: Header=BB6_278 Depth=3
	s_delay_alu instid0(VALU_DEP_2) | instskip(SKIP_3) | instid1(VALU_DEP_2)
	v_dual_add_nc_u32 v16, v43, v45 :: v_dual_lshlrev_b32 v19, 10, v116
	s_trap 2
	v_add_nc_u64_e32 v[36:37], 0x380, v[114:115]
	s_mov_b32 s60, 0
	v_and_b32_e32 v16, 0x3fffffe0, v16
	s_delay_alu instid0(VALU_DEP_1) | instskip(SKIP_2) | instid1(VALU_DEP_1)
	v_sub_nc_u32_e32 v18, v43, v16
	ds_load_b64 v[16:17], v0
	v_lshlrev_b32_e32 v18, 2, v18
	v_add3_u32 v18, v18, v11, v19
	s_delay_alu instid0(VALU_DEP_1) | instskip(NEXT) | instid1(VALU_DEP_1)
	v_ashrrev_i32_e32 v19, 31, v18
	v_add_nc_u64_e32 v[116:117], v[18:19], v[112:113]
	s_wait_dscnt 0x0
	v_add_nc_u64_e32 v[118:119], v[16:17], v[18:19]
	v_add_nc_u64_e32 v[40:41], v[36:37], v[18:19]
.LBB6_372:                              ;   Parent Loop BB6_47 Depth=1
                                        ;     Parent Loop BB6_275 Depth=2
                                        ;       Parent Loop BB6_278 Depth=3
                                        ; =>      This Inner Loop Header: Depth=4
	s_clause 0x7
	flat_load_b32 v16, v[116:117] th:TH_LOAD_NT
	flat_load_b32 v17, v[116:117] offset:128 th:TH_LOAD_NT
	flat_load_b32 v18, v[116:117] offset:256 th:TH_LOAD_NT
	;; [unrolled: 1-line block ×7, first 2 shown]
	s_clause 0x7
	flat_load_b32 v47, v[118:119] th:TH_LOAD_NT
	flat_load_b32 v56, v[118:119] offset:128 th:TH_LOAD_NT
	flat_load_b32 v57, v[118:119] offset:256 th:TH_LOAD_NT
	;; [unrolled: 1-line block ×7, first 2 shown]
	v_sub_nc_u32_e32 v44, v44, v32
	s_wait_xcnt 0x8
	v_add_nc_u64_e32 v[116:117], v[116:117], v[52:53]
	s_wait_xcnt 0x0
	v_add_nc_u64_e32 v[118:119], v[118:119], v[52:53]
	s_wait_loadcnt_dscnt 0x606
	v_dual_mul_f32 v16, v16, v47 :: v_dual_mul_f32 v17, v17, v56
	s_wait_loadcnt_dscnt 0x404
	v_dual_mul_f32 v18, v18, v57 :: v_dual_mul_f32 v19, v19, v72
	s_wait_loadcnt_dscnt 0x303
	v_mul_f32_e32 v36, v36, v73
	v_cmp_gt_i32_e32 vcc_lo, 1, v44
	s_wait_loadcnt_dscnt 0x101
	v_dual_mul_f32 v37, v37, v74 :: v_dual_mul_f32 v38, v38, v75
	s_wait_loadcnt_dscnt 0x0
	v_mul_f32_e32 v39, v39, v76
	s_clause 0x7
	flat_store_b32 v[40:41], v16 offset:-896 th:TH_STORE_NT
	flat_store_b32 v[40:41], v17 offset:-768 th:TH_STORE_NT
	;; [unrolled: 1-line block ×7, first 2 shown]
	flat_store_b32 v[40:41], v39 th:TH_STORE_NT
	s_wait_xcnt 0x0
	v_add_nc_u64_e32 v[40:41], v[40:41], v[52:53]
	s_or_b32 s60, vcc_lo, s60
	s_delay_alu instid0(SALU_CYCLE_1)
	s_and_not1_b32 exec_lo, exec_lo, s60
	s_cbranch_execnz .LBB6_372
; %bb.373:                              ;   in Loop: Header=BB6_278 Depth=3
	s_or_b32 exec_lo, exec_lo, s60
.LBB6_374:                              ;   in Loop: Header=BB6_278 Depth=3
	s_delay_alu instid0(SALU_CYCLE_1) | instskip(SKIP_1) | instid1(VALU_DEP_1)
	s_or_b32 exec_lo, exec_lo, s41
	v_lshlrev_b32_e32 v116, 10, v46
	v_cmp_ne_u32_e32 vcc_lo, v9, v116
	s_and_b32 exec_lo, exec_lo, vcc_lo
	s_cbranch_execz .LBB6_378
; %bb.375:                              ;   in Loop: Header=BB6_278 Depth=3
	v_dual_add_nc_u32 v16, v43, v45 :: v_dual_lshlrev_b32 v17, 5, v44
	s_delay_alu instid0(VALU_DEP_1) | instskip(NEXT) | instid1(VALU_DEP_1)
	v_and_b32_e32 v16, 0xffffffe0, v16
	v_sub_nc_u32_e32 v16, v43, v16
	s_delay_alu instid0(VALU_DEP_1) | instskip(NEXT) | instid1(VALU_DEP_1)
	v_sub_nc_u32_e32 v16, v16, v17
	v_ashrrev_i32_e32 v17, 31, v16
	s_delay_alu instid0(VALU_DEP_1) | instskip(NEXT) | instid1(VALU_DEP_1)
	v_lshrrev_b32_e32 v17, 27, v17
	v_add_nc_u32_e32 v17, v16, v17
	s_delay_alu instid0(VALU_DEP_1) | instskip(NEXT) | instid1(VALU_DEP_1)
	v_and_b32_e32 v18, 0x3fffffe0, v17
	v_dual_lshlrev_b32 v17, 2, v17 :: v_dual_sub_nc_u32 v16, v16, v18
	s_delay_alu instid0(VALU_DEP_1) | instskip(NEXT) | instid1(VALU_DEP_2)
	v_and_b32_e32 v17, 0xffffff80, v17
	v_lshlrev_b32_e32 v16, 2, v16
	s_delay_alu instid0(VALU_DEP_1) | instskip(NEXT) | instid1(VALU_DEP_1)
	v_add3_u32 v116, v17, v16, v116
	v_sub_nc_u32_e32 v9, v9, v116
	s_delay_alu instid0(VALU_DEP_1)
	v_cmp_lt_i32_e32 vcc_lo, 3, v9
	s_and_b32 exec_lo, exec_lo, vcc_lo
	s_cbranch_execz .LBB6_378
; %bb.376:                              ;   in Loop: Header=BB6_278 Depth=3
	s_trap 2
	ds_load_b64 v[16:17], v0
	v_add_nc_u32_e32 v18, v116, v11
	s_mov_b32 s41, 0
	s_delay_alu instid0(VALU_DEP_1) | instskip(NEXT) | instid1(VALU_DEP_1)
	v_ashrrev_i32_e32 v19, 31, v18
	v_add_nc_u64_e32 v[112:113], v[18:19], v[112:113]
	v_add_nc_u64_e32 v[114:115], v[18:19], v[114:115]
	s_wait_dscnt 0x0
	v_add_nc_u64_e32 v[116:117], v[16:17], v[18:19]
.LBB6_377:                              ;   Parent Loop BB6_47 Depth=1
                                        ;     Parent Loop BB6_275 Depth=2
                                        ;       Parent Loop BB6_278 Depth=3
                                        ; =>      This Inner Loop Header: Depth=4
	flat_load_b32 v11, v[112:113] th:TH_LOAD_NT
	flat_load_b32 v16, v[116:117] th:TH_LOAD_NT
	v_sub_nc_u32_e32 v9, v9, v54
	s_wait_xcnt 0x1
	v_add_nc_u64_e32 v[112:113], v[112:113], v[54:55]
	s_wait_xcnt 0x0
	v_add_nc_u64_e32 v[116:117], v[116:117], v[54:55]
	s_wait_loadcnt_dscnt 0x0
	v_mul_f32_e32 v11, v11, v16
	v_cmp_gt_i32_e32 vcc_lo, 4, v9
	flat_store_b32 v[114:115], v11 th:TH_STORE_NT
	s_wait_xcnt 0x0
	v_add_nc_u64_e32 v[114:115], v[114:115], v[54:55]
	s_or_b32 s41, vcc_lo, s41
	s_delay_alu instid0(SALU_CYCLE_1)
	s_and_not1_b32 exec_lo, exec_lo, s41
	s_cbranch_execnz .LBB6_377
.LBB6_378:                              ;   in Loop: Header=BB6_278 Depth=3
	s_or_b32 exec_lo, exec_lo, s13
	v_cmp_lt_i32_e64 s13, 0, v2
	s_and_saveexec_b32 s41, s2
	s_cbranch_execz .LBB6_353
.LBB6_379:                              ;   in Loop: Header=BB6_278 Depth=3
	s_and_saveexec_b32 s60, s3
	s_delay_alu instid0(SALU_CYCLE_1)
	s_xor_b32 s60, exec_lo, s60
	s_cbranch_execz .LBB6_394
; %bb.380:                              ;   in Loop: Header=BB6_278 Depth=3
	s_and_saveexec_b32 s61, s6
	s_cbranch_execz .LBB6_393
; %bb.381:                              ;   in Loop: Header=BB6_278 Depth=3
	s_mov_b32 s63, exec_lo
	s_mov_b32 s62, exec_lo
	v_mbcnt_lo_u32_b32 v2, s63, 0
	global_wb scope:SCOPE_DEV
	s_wait_storecnt 0x0
	s_wait_loadcnt_dscnt 0x0
	global_inv scope:SCOPE_DEV
	v_cmpx_eq_u32_e32 0, v2
	s_cbranch_execz .LBB6_383
; %bb.382:                              ;   in Loop: Header=BB6_278 Depth=3
	s_bcnt1_i32_b32 s63, s63
	s_delay_alu instid0(SALU_CYCLE_1)
	v_mov_b32_e32 v2, s63
	s_wait_loadcnt 0x0
	ds_add_u64 v0, v[2:3]
	s_trap 2
.LBB6_383:                              ;   in Loop: Header=BB6_278 Depth=3
	s_or_b32 exec_lo, exec_lo, s62
	s_trap 2
	ds_load_b64 v[16:17], v0
	s_wait_dscnt 0x0
	v_add_nc_u64_e32 v[12:13], v[12:13], v[32:33]
	s_mov_b32 s62, exec_lo
	s_delay_alu instid0(VALU_DEP_1)
	v_cmpx_lt_u64_e64 v[16:17], v[12:13]
	s_cbranch_execz .LBB6_392
; %bb.384:                              ;   in Loop: Header=BB6_278 Depth=3
	s_mov_b32 s63, 0
	s_mov_b32 s74, 0
                                        ; implicit-def: $sgpr72
                                        ; implicit-def: $sgpr73
	s_branch .LBB6_386
.LBB6_385:                              ;   in Loop: Header=BB6_386 Depth=4
	s_or_b32 exec_lo, exec_lo, s76
	s_delay_alu instid0(SALU_CYCLE_1) | instskip(NEXT) | instid1(SALU_CYCLE_1)
	s_and_b32 s75, exec_lo, s77
	s_or_b32 s63, s75, s63
	s_and_not1_b32 s72, s72, exec_lo
	s_and_b32 s75, s73, exec_lo
	s_delay_alu instid0(SALU_CYCLE_1)
	s_or_b32 s72, s72, s75
	s_and_not1_b32 exec_lo, exec_lo, s63
	s_cbranch_execz .LBB6_390
.LBB6_386:                              ;   Parent Loop BB6_47 Depth=1
                                        ;     Parent Loop BB6_275 Depth=2
                                        ;       Parent Loop BB6_278 Depth=3
                                        ; =>      This Inner Loop Header: Depth=4
	s_add_co_i32 s74, s74, 1
	s_delay_alu instid0(SALU_CYCLE_1) | instskip(SKIP_1) | instid1(SALU_CYCLE_1)
	s_cmp_lg_u32 s74, 0x2710
	s_cselect_b32 s75, -1, 0
	s_and_b32 vcc_lo, exec_lo, s75
	s_cbranch_vccz .LBB6_388
; %bb.387:                              ;   in Loop: Header=BB6_386 Depth=4
	s_mov_b32 s77, -1
	s_or_b32 s73, s73, exec_lo
	s_and_saveexec_b32 s76, s75
	s_cbranch_execz .LBB6_385
	s_branch .LBB6_389
.LBB6_388:                              ;   in Loop: Header=BB6_386 Depth=4
	s_trap 2
	ds_load_b64 v[16:17], v0
	s_and_not1_b32 s75, s75, exec_lo
	s_mov_b32 s74, 0
	s_wait_loadcnt_dscnt 0x0
	flat_load_b32 v2, v[16:17] scope:SCOPE_SYS
	s_wait_loadcnt_dscnt 0x0
	global_inv scope:SCOPE_SYS
	v_cmp_eq_u32_e32 vcc_lo, 0, v2
	s_and_b32 s76, vcc_lo, exec_lo
	s_delay_alu instid0(SALU_CYCLE_1)
	s_or_b32 s75, s75, s76
	s_mov_b32 s77, -1
	s_or_b32 s73, s73, exec_lo
	s_and_saveexec_b32 s76, s75
	s_cbranch_execz .LBB6_385
.LBB6_389:                              ;   in Loop: Header=BB6_386 Depth=4
	s_sleep 1
	s_trap 2
	ds_load_b64 v[16:17], v0
	s_wait_dscnt 0x0
	s_and_not1_b32 s73, s73, exec_lo
	v_cmp_ge_u64_e32 vcc_lo, v[16:17], v[12:13]
	s_or_not1_b32 s77, vcc_lo, exec_lo
	s_branch .LBB6_385
.LBB6_390:                              ;   in Loop: Header=BB6_278 Depth=3
	s_or_b32 exec_lo, exec_lo, s63
	s_and_saveexec_b32 s63, s72
	s_delay_alu instid0(SALU_CYCLE_1)
	s_xor_b32 s63, exec_lo, s63
	s_cbranch_execz .LBB6_392
; %bb.391:                              ;   in Loop: Header=BB6_278 Depth=3
	ds_store_b32 v0, v59
	s_trap 2
.LBB6_392:                              ;   in Loop: Header=BB6_278 Depth=3
	s_or_b32 exec_lo, exec_lo, s62
	;;#ASMSTART
	s_wakeup
	;;#ASMEND
.LBB6_393:                              ;   in Loop: Header=BB6_278 Depth=3
	s_or_b32 exec_lo, exec_lo, s61
.LBB6_394:                              ;   in Loop: Header=BB6_278 Depth=3
	s_and_not1_saveexec_b32 s60, s60
	s_cbranch_execz .LBB6_396
; %bb.395:                              ;   in Loop: Header=BB6_278 Depth=3
	global_wb scope:SCOPE_DEV
	s_wait_storecnt 0x0
	s_wait_loadcnt_dscnt 0x0
	global_inv scope:SCOPE_DEV
	s_barrier_signal -1
	s_barrier_wait -1
.LBB6_396:                              ;   in Loop: Header=BB6_278 Depth=3
	s_or_b32 exec_lo, exec_lo, s60
	s_delay_alu instid0(SALU_CYCLE_1) | instskip(SKIP_1) | instid1(SALU_CYCLE_1)
	s_or_b32 exec_lo, exec_lo, s41
                                        ; implicit-def: $vgpr2
	s_and_saveexec_b32 s41, s10
	s_xor_b32 s41, exec_lo, s41
	s_cbranch_execnz .LBB6_354
.LBB6_397:                              ;   in Loop: Header=BB6_278 Depth=3
	s_and_not1_saveexec_b32 s13, s41
	s_cbranch_execz .LBB6_416
.LBB6_398:                              ;   in Loop: Header=BB6_278 Depth=3
	s_and_saveexec_b32 s41, s3
	s_delay_alu instid0(SALU_CYCLE_1)
	s_xor_b32 s41, exec_lo, s41
	s_cbranch_execz .LBB6_413
; %bb.399:                              ;   in Loop: Header=BB6_278 Depth=3
	s_and_saveexec_b32 s60, s6
	s_cbranch_execz .LBB6_412
; %bb.400:                              ;   in Loop: Header=BB6_278 Depth=3
	s_mov_b32 s62, exec_lo
	s_mov_b32 s61, exec_lo
	v_mbcnt_lo_u32_b32 v2, s62, 0
	;;#ASMSTART
	s_waitcnt lgkmcnt(0) vmcnt(0)
	;;#ASMEND
	s_delay_alu instid0(VALU_DEP_1)
	v_cmpx_eq_u32_e32 0, v2
	s_cbranch_execz .LBB6_402
; %bb.401:                              ;   in Loop: Header=BB6_278 Depth=3
	s_bcnt1_i32_b32 s62, s62
	s_delay_alu instid0(SALU_CYCLE_1)
	v_mov_b32_e32 v2, s62
	s_wait_storecnt 0x0
	s_wait_loadcnt_dscnt 0x0
	ds_add_u64 v0, v[2:3]
	s_trap 2
.LBB6_402:                              ;   in Loop: Header=BB6_278 Depth=3
	s_or_b32 exec_lo, exec_lo, s61
	s_trap 2
	ds_load_b64 v[16:17], v0
	s_wait_dscnt 0x0
	v_add_nc_u64_e32 v[12:13], v[12:13], v[32:33]
	s_mov_b32 s61, exec_lo
	s_delay_alu instid0(VALU_DEP_1)
	v_cmpx_lt_u64_e64 v[16:17], v[12:13]
	s_cbranch_execz .LBB6_411
; %bb.403:                              ;   in Loop: Header=BB6_278 Depth=3
	s_mov_b32 s62, 0
	s_mov_b32 s73, 0
                                        ; implicit-def: $sgpr63
                                        ; implicit-def: $sgpr72
	s_branch .LBB6_405
.LBB6_404:                              ;   in Loop: Header=BB6_405 Depth=4
	s_or_b32 exec_lo, exec_lo, s75
	s_delay_alu instid0(SALU_CYCLE_1) | instskip(NEXT) | instid1(SALU_CYCLE_1)
	s_and_b32 s74, exec_lo, s76
	s_or_b32 s62, s74, s62
	s_and_not1_b32 s63, s63, exec_lo
	s_and_b32 s74, s72, exec_lo
	s_delay_alu instid0(SALU_CYCLE_1)
	s_or_b32 s63, s63, s74
	s_and_not1_b32 exec_lo, exec_lo, s62
	s_cbranch_execz .LBB6_409
.LBB6_405:                              ;   Parent Loop BB6_47 Depth=1
                                        ;     Parent Loop BB6_275 Depth=2
                                        ;       Parent Loop BB6_278 Depth=3
                                        ; =>      This Inner Loop Header: Depth=4
	s_add_co_i32 s73, s73, 1
	s_delay_alu instid0(SALU_CYCLE_1) | instskip(SKIP_1) | instid1(SALU_CYCLE_1)
	s_cmp_lg_u32 s73, 0x2710
	s_cselect_b32 s74, -1, 0
	s_and_b32 vcc_lo, exec_lo, s74
	s_cbranch_vccz .LBB6_407
; %bb.406:                              ;   in Loop: Header=BB6_405 Depth=4
	s_mov_b32 s76, -1
	s_or_b32 s72, s72, exec_lo
	s_and_saveexec_b32 s75, s74
	s_cbranch_execz .LBB6_404
	s_branch .LBB6_408
.LBB6_407:                              ;   in Loop: Header=BB6_405 Depth=4
	s_trap 2
	ds_load_b64 v[16:17], v0
	s_and_not1_b32 s74, s74, exec_lo
	s_mov_b32 s73, 0
	s_wait_storecnt 0x0
	s_wait_loadcnt_dscnt 0x0
	flat_load_b32 v2, v[16:17] scope:SCOPE_SYS
	s_wait_loadcnt_dscnt 0x0
	global_inv scope:SCOPE_SYS
	v_cmp_eq_u32_e32 vcc_lo, 0, v2
	s_and_b32 s75, vcc_lo, exec_lo
	s_delay_alu instid0(SALU_CYCLE_1)
	s_or_b32 s74, s74, s75
	s_mov_b32 s76, -1
	s_or_b32 s72, s72, exec_lo
	s_and_saveexec_b32 s75, s74
	s_cbranch_execz .LBB6_404
.LBB6_408:                              ;   in Loop: Header=BB6_405 Depth=4
	s_sleep 1
	s_trap 2
	ds_load_b64 v[16:17], v0
	s_wait_dscnt 0x0
	s_and_not1_b32 s72, s72, exec_lo
	v_cmp_ge_u64_e32 vcc_lo, v[16:17], v[12:13]
	s_or_not1_b32 s76, vcc_lo, exec_lo
	s_branch .LBB6_404
.LBB6_409:                              ;   in Loop: Header=BB6_278 Depth=3
	s_or_b32 exec_lo, exec_lo, s62
	s_and_saveexec_b32 s62, s63
	s_delay_alu instid0(SALU_CYCLE_1)
	s_xor_b32 s62, exec_lo, s62
	s_cbranch_execz .LBB6_411
; %bb.410:                              ;   in Loop: Header=BB6_278 Depth=3
	ds_store_b32 v0, v59
	s_trap 2
.LBB6_411:                              ;   in Loop: Header=BB6_278 Depth=3
	s_or_b32 exec_lo, exec_lo, s61
	;;#ASMSTART
	s_wakeup
	;;#ASMEND
.LBB6_412:                              ;   in Loop: Header=BB6_278 Depth=3
	s_or_b32 exec_lo, exec_lo, s60
.LBB6_413:                              ;   in Loop: Header=BB6_278 Depth=3
	s_and_not1_saveexec_b32 s41, s41
	s_cbranch_execz .LBB6_415
; %bb.414:                              ;   in Loop: Header=BB6_278 Depth=3
	;;#ASMSTART
	s_waitcnt lgkmcnt(0) vmcnt(0)
	;;#ASMEND
	s_barrier_signal -1
	s_barrier_wait -1
.LBB6_415:                              ;   in Loop: Header=BB6_278 Depth=3
	s_or_b32 exec_lo, exec_lo, s41
	v_and_b32_e32 v2, 16, v30
.LBB6_416:                              ;   in Loop: Header=BB6_278 Depth=3
	s_or_b32 exec_lo, exec_lo, s13
	s_delay_alu instid0(VALU_DEP_1) | instskip(SKIP_1) | instid1(SALU_CYCLE_1)
	v_cmp_ne_u32_e32 vcc_lo, 0, v2
	s_xor_b32 s13, s4, -1
	s_and_b32 s41, vcc_lo, s13
	s_delay_alu instid0(SALU_CYCLE_1)
	s_and_saveexec_b32 s13, s41
	s_cbranch_execz .LBB6_418
; %bb.417:                              ;   in Loop: Header=BB6_278 Depth=3
	global_wb scope:SCOPE_SYS
	s_wait_storecnt 0x0
	s_wait_loadcnt_dscnt 0x0
	flat_store_b32 v[26:27], v59 scope:SCOPE_SYS
.LBB6_418:                              ;   in Loop: Header=BB6_278 Depth=3
	s_wait_xcnt 0x0
	s_or_b32 exec_lo, exec_lo, s13
	v_and_b32_e32 v2, 48, v30
	s_mov_b32 s13, exec_lo
	s_delay_alu instid0(VALU_DEP_1)
	v_cmpx_ne_u32_e32 0, v2
	s_cbranch_execz .LBB6_277
; %bb.419:                              ;   in Loop: Header=BB6_278 Depth=3
	v_add_nc_u64_e32 v[96:97], 2, v[96:97]
	global_wb scope:SCOPE_SYS
	s_wait_storecnt 0x0
	s_wait_loadcnt_dscnt 0x0
	flat_store_b64 v[20:21], v[96:97] scope:SCOPE_SYS
	s_branch .LBB6_277
.LBB6_420:                              ;   in Loop: Header=BB6_275 Depth=2
	s_or_b32 exec_lo, exec_lo, s18
.LBB6_421:                              ;   in Loop: Header=BB6_275 Depth=2
	s_delay_alu instid0(SALU_CYCLE_1) | instskip(NEXT) | instid1(SALU_CYCLE_1)
	s_or_b32 exec_lo, exec_lo, s15
	s_mov_b32 s15, exec_lo
	v_cmpx_gt_i32_e32 2, v2
	s_cbranch_execz .LBB6_274
; %bb.422:                              ;   in Loop: Header=BB6_275 Depth=2
	v_cmp_eq_u32_e64 s27, 0, v2
	s_mov_b32 s18, 0
	s_branch .LBB6_424
.LBB6_423:                              ;   in Loop: Header=BB6_424 Depth=3
	s_wait_xcnt 0x0
	s_or_b32 exec_lo, exec_lo, s13
	v_add_nc_u32_e32 v10, v8, v10
	s_mov_b32 s27, 0
	s_and_not1_b32 exec_lo, exec_lo, s18
	s_cbranch_execz .LBB6_273
.LBB6_424:                              ;   Parent Loop BB6_47 Depth=1
                                        ;     Parent Loop BB6_275 Depth=2
                                        ; =>    This Loop Header: Depth=3
                                        ;         Child Loop BB6_430 Depth 4
                                        ;         Child Loop BB6_458 Depth 4
	;; [unrolled: 1-line block ×3, first 2 shown]
	s_delay_alu instid0(VALU_DEP_1) | instskip(SKIP_2) | instid1(VALU_DEP_2)
	v_sub_nc_u32_e32 v2, v42, v10
	v_and_b32_e32 v9, 12, v30
	s_mov_b32 s40, exec_lo
	v_min_i32_e32 v8, v8, v2
	s_delay_alu instid0(VALU_DEP_2)
	v_cmpx_ne_u32_e32 0, v9
	s_cbranch_execz .LBB6_450
; %bb.425:                              ;   in Loop: Header=BB6_424 Depth=3
	v_and_b32_e32 v2, 8, v30
	v_add_nc_u64_e32 v[102:103], 2, v[96:97]
	s_mov_b32 s41, exec_lo
	s_wait_loadcnt_dscnt 0x1
	s_delay_alu instid0(VALU_DEP_2) | instskip(NEXT) | instid1(VALU_DEP_1)
	v_add_nc_u64_e32 v[16:17], v[28:29], v[2:3]
	v_cmpx_lt_u64_e64 v[16:17], v[102:103]
	s_cbranch_execz .LBB6_437
; %bb.426:                              ;   in Loop: Header=BB6_424 Depth=3
	v_and_b32_e32 v9, 64, v30
	s_mov_b32 s60, 0
	s_mov_b32 s72, 0
                                        ; implicit-def: $sgpr61
                                        ; implicit-def: $sgpr62
                                        ; implicit-def: $sgpr63
	s_delay_alu instid0(VALU_DEP_1)
	v_cmp_eq_u32_e32 vcc_lo, 0, v9
	s_branch .LBB6_430
.LBB6_427:                              ;   in Loop: Header=BB6_430 Depth=4
	s_wait_loadcnt_dscnt 0x0
	v_add_nc_u64_e32 v[16:17], v[28:29], v[2:3]
	s_or_b32 s75, s75, exec_lo
	s_delay_alu instid0(VALU_DEP_1)
	v_cmp_ge_u64_e64 s13, v[16:17], v[102:103]
	s_or_not1_b32 s74, s13, exec_lo
.LBB6_428:                              ;   in Loop: Header=BB6_430 Depth=4
	s_or_b32 exec_lo, exec_lo, s77
	s_delay_alu instid0(SALU_CYCLE_1)
	s_and_not1_b32 s13, s63, exec_lo
	s_and_b32 s63, s75, exec_lo
	s_and_not1_b32 s62, s62, exec_lo
	s_and_b32 s74, s74, exec_lo
	s_or_b32 s63, s13, s63
	s_or_b32 s62, s62, s74
.LBB6_429:                              ;   in Loop: Header=BB6_430 Depth=4
	s_or_b32 exec_lo, exec_lo, s73
	s_delay_alu instid0(SALU_CYCLE_1) | instskip(NEXT) | instid1(SALU_CYCLE_1)
	s_and_b32 s13, exec_lo, s62
	s_or_b32 s60, s13, s60
	s_and_not1_b32 s13, s61, exec_lo
	s_and_b32 s61, s63, exec_lo
	s_delay_alu instid0(SALU_CYCLE_1)
	s_or_b32 s61, s13, s61
	s_and_not1_b32 exec_lo, exec_lo, s60
	s_cbranch_execz .LBB6_434
.LBB6_430:                              ;   Parent Loop BB6_47 Depth=1
                                        ;     Parent Loop BB6_275 Depth=2
                                        ;       Parent Loop BB6_424 Depth=3
                                        ; =>      This Inner Loop Header: Depth=4
	s_sleep 1
	s_wait_loadcnt_dscnt 0x0
	flat_load_b64 v[28:29], v[20:21] scope:SCOPE_SYS
	s_or_b32 s63, s63, exec_lo
	s_or_b32 s62, s62, exec_lo
                                        ; implicit-def: $vgpr9
	s_wait_xcnt 0x0
	s_and_saveexec_b32 s73, vcc_lo
	s_cbranch_execz .LBB6_429
; %bb.431:                              ;   in Loop: Header=BB6_430 Depth=4
	s_cmp_lt_i32 s72, 0x270f
	s_mov_b32 s74, -1
	s_cselect_b32 s76, -1, 0
	s_cmp_gt_i32 s72, 0x270e
	s_cbranch_scc0 .LBB6_433
; %bb.432:                              ;   in Loop: Header=BB6_430 Depth=4
	s_trap 2
	ds_load_b64 v[16:17], v0
	s_and_not1_b32 s72, s76, exec_lo
	s_mov_b32 s75, 0
	s_wait_storecnt 0x0
	s_wait_loadcnt_dscnt 0x0
	flat_load_b32 v9, v[16:17] scope:SCOPE_SYS
	s_wait_loadcnt_dscnt 0x0
	global_inv scope:SCOPE_SYS
	v_cmp_eq_u32_e64 s13, 0, v9
	s_and_b32 s13, s13, exec_lo
	s_delay_alu instid0(SALU_CYCLE_1)
	s_or_b32 s76, s72, s13
	s_mov_b32 s72, 0
	s_and_saveexec_b32 s77, s76
	s_cbranch_execz .LBB6_428
	s_branch .LBB6_427
.LBB6_433:                              ;   in Loop: Header=BB6_430 Depth=4
	s_add_co_i32 s72, s72, 1
	s_mov_b32 s75, -1
                                        ; implicit-def: $vgpr9
	s_and_saveexec_b32 s77, s76
	s_cbranch_execz .LBB6_428
	s_branch .LBB6_427
.LBB6_434:                              ;   in Loop: Header=BB6_424 Depth=3
	s_or_b32 exec_lo, exec_lo, s60
	s_xor_b32 s13, s61, -1
	s_delay_alu instid0(SALU_CYCLE_1) | instskip(NEXT) | instid1(SALU_CYCLE_1)
	s_and_saveexec_b32 s60, s13
	s_xor_b32 s13, exec_lo, s60
	s_cbranch_execz .LBB6_436
; %bb.435:                              ;   in Loop: Header=BB6_424 Depth=3
	v_or_b32_e32 v30, 64, v30
	s_wait_storecnt 0x0
	s_wait_loadcnt_dscnt 0x0
	ds_store_b32 v0, v9
	s_trap 2
.LBB6_436:                              ;   in Loop: Header=BB6_424 Depth=3
	s_or_b32 exec_lo, exec_lo, s13
.LBB6_437:                              ;   in Loop: Header=BB6_424 Depth=3
	s_delay_alu instid0(SALU_CYCLE_1) | instskip(SKIP_3) | instid1(VALU_DEP_1)
	s_or_b32 exec_lo, exec_lo, s41
	v_and_b32_e32 v9, 0x108, v30
	s_mov_b32 s13, exec_lo
	;;#ASMSTART
	s_wakeup
	;;#ASMEND
                                        ; implicit-def: $vgpr112_vgpr113
	v_cmpx_ne_u32_e32 0x108, v9
	s_xor_b32 s13, exec_lo, s13
; %bb.438:                              ;   in Loop: Header=BB6_424 Depth=3
	v_dual_mov_b32 v113, v3 :: v_dual_bitop2_b32 v112, 7, v96 bitop3:0x40
                                        ; implicit-def: $vgpr96_vgpr97
; %bb.439:                              ;   in Loop: Header=BB6_424 Depth=3
	s_and_not1_saveexec_b32 s13, s13
	s_cbranch_execz .LBB6_441
; %bb.440:                              ;   in Loop: Header=BB6_424 Depth=3
	v_dual_mov_b32 v113, v3 :: v_dual_bitop2_b32 v112, 7, v96 bitop3:0x40
	v_ashrrev_i32_e32 v9, 31, v8
	s_delay_alu instid0(VALU_DEP_2) | instskip(NEXT) | instid1(VALU_DEP_2)
	v_mad_nc_u64_u32 v[16:17], v112, 24, v[6:7]
	v_lshlrev_b64_e32 v[18:19], 2, v[8:9]
	flat_store_b64 v[16:17], v[18:19] offset:8
.LBB6_441:                              ;   in Loop: Header=BB6_424 Depth=3
	s_wait_xcnt 0x0
	s_or_b32 exec_lo, exec_lo, s13
	v_and_b32_e32 v9, 0x100, v30
	s_mov_b32 s13, -1
	s_mov_b32 s41, exec_lo
                                        ; implicit-def: $vgpr96_vgpr97
	s_delay_alu instid0(VALU_DEP_1)
	v_cmpx_ne_u32_e32 0, v9
	s_cbranch_execz .LBB6_445
; %bb.442:                              ;   in Loop: Header=BB6_424 Depth=3
	v_mad_nc_u64_u32 v[114:115], v112, 24, v[6:7]
	s_mov_b32 s60, exec_lo
                                        ; implicit-def: $vgpr96_vgpr97
	s_delay_alu instid0(VALU_DEP_1)
	v_mad_u32 v115, v113, 24, v115
	flat_load_b32 v9, v[114:115]
	s_wait_loadcnt_dscnt 0x0
	v_cmp_ne_u32_e32 vcc_lo, 1, v9
	s_wait_xcnt 0x0
	v_cmpx_eq_u32_e32 1, v9
	s_cbranch_execz .LBB6_444
; %bb.443:                              ;   in Loop: Header=BB6_424 Depth=3
	flat_load_b32 v16, v[114:115] offset:4 scope:SCOPE_SYS
	s_wait_loadcnt_dscnt 0x0
	v_ashrrev_i32_e32 v17, 31, v16
	s_delay_alu instid0(VALU_DEP_1)
	v_lshrrev_b64 v[96:97], 2, v[16:17]
.LBB6_444:                              ;   in Loop: Header=BB6_424 Depth=3
	s_wait_xcnt 0x0
	s_or_b32 exec_lo, exec_lo, s60
	s_delay_alu instid0(SALU_CYCLE_1)
	s_or_not1_b32 s13, vcc_lo, exec_lo
.LBB6_445:                              ;   in Loop: Header=BB6_424 Depth=3
	s_or_b32 exec_lo, exec_lo, s41
	s_and_saveexec_b32 s41, s13
; %bb.446:                              ;   in Loop: Header=BB6_424 Depth=3
	v_mul_u64_e32 v[96:97], v[112:113], v[22:23]
; %bb.447:                              ;   in Loop: Header=BB6_424 Depth=3
	s_or_b32 exec_lo, exec_lo, s41
	v_cmp_eq_u32_e32 vcc_lo, 0, v2
	v_and_b32_e32 v9, 0x2000, v30
	s_delay_alu instid0(VALU_DEP_3) | instskip(SKIP_2) | instid1(VALU_DEP_1)
	v_lshl_add_u64 v[16:17], v[96:97], 2, v[24:25]
	s_mov_b32 s13, exec_lo
	v_cndmask_b32_e32 v2, 0xc8, v60, vcc_lo
	v_add_nc_u32_e32 v2, v0, v2
	ds_store_b64 v2, v[16:17] offset:584
	v_cmpx_ne_u32_e32 0, v9
	s_cbranch_execz .LBB6_449
; %bb.448:                              ;   in Loop: Header=BB6_424 Depth=3
	ds_load_b64 v[16:17], v0 offset:872
	s_wait_dscnt 0x0
	v_add_nc_u64_e32 v[16:17], 1, v[16:17]
	ds_store_b64 v0, v[16:17] offset:872
.LBB6_449:                              ;   in Loop: Header=BB6_424 Depth=3
	s_or_b32 exec_lo, exec_lo, s13
	v_mov_b64_e32 v[96:97], v[102:103]
.LBB6_450:                              ;   in Loop: Header=BB6_424 Depth=3
	s_or_b32 exec_lo, exec_lo, s40
	s_xor_b32 s13, s27, -1
	s_delay_alu instid0(SALU_CYCLE_1) | instskip(NEXT) | instid1(SALU_CYCLE_1)
	s_and_b32 s13, exec_lo, s13
	s_or_b32 s18, s13, s18
	s_and_saveexec_b32 s13, s2
	s_cbranch_execz .LBB6_469
; %bb.451:                              ;   in Loop: Header=BB6_424 Depth=3
	s_and_saveexec_b32 s27, s3
	s_delay_alu instid0(SALU_CYCLE_1)
	s_xor_b32 s27, exec_lo, s27
	s_cbranch_execz .LBB6_466
; %bb.452:                              ;   in Loop: Header=BB6_424 Depth=3
	s_and_saveexec_b32 s40, s6
	s_cbranch_execz .LBB6_465
; %bb.453:                              ;   in Loop: Header=BB6_424 Depth=3
	s_mov_b32 s60, exec_lo
	s_mov_b32 s41, exec_lo
	v_mbcnt_lo_u32_b32 v2, s60, 0
	global_wb scope:SCOPE_DEV
	s_wait_storecnt 0x0
	s_wait_loadcnt_dscnt 0x0
	global_inv scope:SCOPE_DEV
	v_cmpx_eq_u32_e32 0, v2
	s_cbranch_execz .LBB6_455
; %bb.454:                              ;   in Loop: Header=BB6_424 Depth=3
	s_bcnt1_i32_b32 s60, s60
	s_delay_alu instid0(SALU_CYCLE_1)
	v_mov_b32_e32 v2, s60
	s_wait_loadcnt 0x0
	ds_add_u64 v0, v[2:3]
	s_trap 2
.LBB6_455:                              ;   in Loop: Header=BB6_424 Depth=3
	s_or_b32 exec_lo, exec_lo, s41
	s_trap 2
	ds_load_b64 v[16:17], v0
	s_wait_dscnt 0x0
	v_add_nc_u64_e32 v[12:13], v[12:13], v[32:33]
	s_mov_b32 s41, exec_lo
	s_delay_alu instid0(VALU_DEP_1)
	v_cmpx_lt_u64_e64 v[16:17], v[12:13]
	s_cbranch_execz .LBB6_464
; %bb.456:                              ;   in Loop: Header=BB6_424 Depth=3
	s_mov_b32 s60, 0
	s_mov_b32 s63, 0
                                        ; implicit-def: $sgpr61
                                        ; implicit-def: $sgpr62
	s_branch .LBB6_458
.LBB6_457:                              ;   in Loop: Header=BB6_458 Depth=4
	s_or_b32 exec_lo, exec_lo, s73
	s_delay_alu instid0(SALU_CYCLE_1) | instskip(NEXT) | instid1(SALU_CYCLE_1)
	s_and_b32 s72, exec_lo, s74
	s_or_b32 s60, s72, s60
	s_and_not1_b32 s61, s61, exec_lo
	s_and_b32 s72, s62, exec_lo
	s_delay_alu instid0(SALU_CYCLE_1)
	s_or_b32 s61, s61, s72
	s_and_not1_b32 exec_lo, exec_lo, s60
	s_cbranch_execz .LBB6_462
.LBB6_458:                              ;   Parent Loop BB6_47 Depth=1
                                        ;     Parent Loop BB6_275 Depth=2
                                        ;       Parent Loop BB6_424 Depth=3
                                        ; =>      This Inner Loop Header: Depth=4
	s_add_co_i32 s63, s63, 1
	s_delay_alu instid0(SALU_CYCLE_1) | instskip(SKIP_1) | instid1(SALU_CYCLE_1)
	s_cmp_lg_u32 s63, 0x2710
	s_cselect_b32 s72, -1, 0
	s_and_b32 vcc_lo, exec_lo, s72
	s_cbranch_vccz .LBB6_460
; %bb.459:                              ;   in Loop: Header=BB6_458 Depth=4
	s_mov_b32 s74, -1
	s_or_b32 s62, s62, exec_lo
	s_and_saveexec_b32 s73, s72
	s_cbranch_execz .LBB6_457
	s_branch .LBB6_461
.LBB6_460:                              ;   in Loop: Header=BB6_458 Depth=4
	s_trap 2
	ds_load_b64 v[16:17], v0
	s_and_not1_b32 s72, s72, exec_lo
	s_mov_b32 s63, 0
	s_wait_loadcnt_dscnt 0x0
	flat_load_b32 v2, v[16:17] scope:SCOPE_SYS
	s_wait_loadcnt_dscnt 0x0
	global_inv scope:SCOPE_SYS
	v_cmp_eq_u32_e32 vcc_lo, 0, v2
	s_and_b32 s73, vcc_lo, exec_lo
	s_delay_alu instid0(SALU_CYCLE_1)
	s_or_b32 s72, s72, s73
	s_mov_b32 s74, -1
	s_or_b32 s62, s62, exec_lo
	s_and_saveexec_b32 s73, s72
	s_cbranch_execz .LBB6_457
.LBB6_461:                              ;   in Loop: Header=BB6_458 Depth=4
	s_sleep 1
	s_trap 2
	ds_load_b64 v[16:17], v0
	s_wait_dscnt 0x0
	s_and_not1_b32 s62, s62, exec_lo
	v_cmp_ge_u64_e32 vcc_lo, v[16:17], v[12:13]
	s_or_not1_b32 s74, vcc_lo, exec_lo
	s_branch .LBB6_457
.LBB6_462:                              ;   in Loop: Header=BB6_424 Depth=3
	s_or_b32 exec_lo, exec_lo, s60
	s_and_saveexec_b32 s60, s61
	s_delay_alu instid0(SALU_CYCLE_1)
	s_xor_b32 s60, exec_lo, s60
	s_cbranch_execz .LBB6_464
; %bb.463:                              ;   in Loop: Header=BB6_424 Depth=3
	ds_store_b32 v0, v59
	s_trap 2
.LBB6_464:                              ;   in Loop: Header=BB6_424 Depth=3
	s_or_b32 exec_lo, exec_lo, s41
	;;#ASMSTART
	s_wakeup
	;;#ASMEND
.LBB6_465:                              ;   in Loop: Header=BB6_424 Depth=3
	s_or_b32 exec_lo, exec_lo, s40
.LBB6_466:                              ;   in Loop: Header=BB6_424 Depth=3
	s_and_not1_saveexec_b32 s27, s27
	s_cbranch_execz .LBB6_468
; %bb.467:                              ;   in Loop: Header=BB6_424 Depth=3
	global_wb scope:SCOPE_DEV
	s_wait_storecnt 0x0
	s_wait_loadcnt_dscnt 0x0
	global_inv scope:SCOPE_DEV
	s_barrier_signal -1
	s_barrier_wait -1
.LBB6_468:                              ;   in Loop: Header=BB6_424 Depth=3
	s_or_b32 exec_lo, exec_lo, s27
.LBB6_469:                              ;   in Loop: Header=BB6_424 Depth=3
	s_delay_alu instid0(SALU_CYCLE_1) | instskip(SKIP_1) | instid1(SALU_CYCLE_1)
	s_or_b32 exec_lo, exec_lo, s13
                                        ; implicit-def: $vgpr2
	s_and_saveexec_b32 s13, s47
	s_xor_b32 s13, exec_lo, s13
	s_cbranch_execz .LBB6_481
; %bb.470:                              ;   in Loop: Header=BB6_424 Depth=3
	s_and_saveexec_b32 s27, s3
	s_delay_alu instid0(SALU_CYCLE_1)
	s_xor_b32 s27, exec_lo, s27
	s_cbranch_execz .LBB6_486
; %bb.471:                              ;   in Loop: Header=BB6_424 Depth=3
	s_and_saveexec_b32 s40, s6
	s_cbranch_execz .LBB6_485
; %bb.472:                              ;   in Loop: Header=BB6_424 Depth=3
	s_mov_b32 s60, exec_lo
	s_mov_b32 s41, exec_lo
	v_mbcnt_lo_u32_b32 v2, s60, 0
	;;#ASMSTART
	s_waitcnt lgkmcnt(0) vmcnt(0)
	;;#ASMEND
	s_delay_alu instid0(VALU_DEP_1)
	v_cmpx_eq_u32_e32 0, v2
	s_cbranch_execz .LBB6_474
; %bb.473:                              ;   in Loop: Header=BB6_424 Depth=3
	s_bcnt1_i32_b32 s60, s60
	s_delay_alu instid0(SALU_CYCLE_1)
	v_mov_b32_e32 v2, s60
	s_wait_storecnt 0x0
	s_wait_loadcnt_dscnt 0x0
	ds_add_u64 v0, v[2:3]
	s_trap 2
.LBB6_474:                              ;   in Loop: Header=BB6_424 Depth=3
	s_or_b32 exec_lo, exec_lo, s41
	s_trap 2
	ds_load_b64 v[16:17], v0
	s_wait_dscnt 0x0
	v_add_nc_u64_e32 v[12:13], v[12:13], v[32:33]
	s_mov_b32 s41, exec_lo
	s_delay_alu instid0(VALU_DEP_1)
	v_cmpx_lt_u64_e64 v[16:17], v[12:13]
	s_cbranch_execz .LBB6_484
; %bb.475:                              ;   in Loop: Header=BB6_424 Depth=3
	s_mov_b32 s60, 0
	s_mov_b32 s63, 0
                                        ; implicit-def: $sgpr61
                                        ; implicit-def: $sgpr62
	s_branch .LBB6_477
.LBB6_476:                              ;   in Loop: Header=BB6_477 Depth=4
	s_or_b32 exec_lo, exec_lo, s73
	s_delay_alu instid0(SALU_CYCLE_1) | instskip(NEXT) | instid1(SALU_CYCLE_1)
	s_and_b32 s72, exec_lo, s74
	s_or_b32 s60, s72, s60
	s_and_not1_b32 s61, s61, exec_lo
	s_and_b32 s72, s62, exec_lo
	s_delay_alu instid0(SALU_CYCLE_1)
	s_or_b32 s61, s61, s72
	s_and_not1_b32 exec_lo, exec_lo, s60
	s_cbranch_execz .LBB6_482
.LBB6_477:                              ;   Parent Loop BB6_47 Depth=1
                                        ;     Parent Loop BB6_275 Depth=2
                                        ;       Parent Loop BB6_424 Depth=3
                                        ; =>      This Inner Loop Header: Depth=4
	s_add_co_i32 s63, s63, 1
	s_delay_alu instid0(SALU_CYCLE_1) | instskip(SKIP_1) | instid1(SALU_CYCLE_1)
	s_cmp_lg_u32 s63, 0x2710
	s_cselect_b32 s72, -1, 0
	s_and_b32 vcc_lo, exec_lo, s72
	s_cbranch_vccz .LBB6_479
; %bb.478:                              ;   in Loop: Header=BB6_477 Depth=4
	s_mov_b32 s74, -1
	s_or_b32 s62, s62, exec_lo
	s_and_saveexec_b32 s73, s72
	s_cbranch_execz .LBB6_476
	s_branch .LBB6_480
.LBB6_479:                              ;   in Loop: Header=BB6_477 Depth=4
	s_trap 2
	ds_load_b64 v[16:17], v0
	s_and_not1_b32 s72, s72, exec_lo
	s_mov_b32 s63, 0
	s_wait_storecnt 0x0
	s_wait_loadcnt_dscnt 0x0
	flat_load_b32 v2, v[16:17] scope:SCOPE_SYS
	s_wait_loadcnt_dscnt 0x0
	global_inv scope:SCOPE_SYS
	v_cmp_eq_u32_e32 vcc_lo, 0, v2
	s_and_b32 s73, vcc_lo, exec_lo
	s_delay_alu instid0(SALU_CYCLE_1)
	s_or_b32 s72, s72, s73
	s_mov_b32 s74, -1
	s_or_b32 s62, s62, exec_lo
	s_and_saveexec_b32 s73, s72
	s_cbranch_execz .LBB6_476
.LBB6_480:                              ;   in Loop: Header=BB6_477 Depth=4
	s_sleep 1
	s_trap 2
	ds_load_b64 v[16:17], v0
	s_wait_dscnt 0x0
	s_and_not1_b32 s62, s62, exec_lo
	v_cmp_ge_u64_e32 vcc_lo, v[16:17], v[12:13]
	s_or_not1_b32 s74, vcc_lo, exec_lo
	s_branch .LBB6_476
.LBB6_481:                              ;   in Loop: Header=BB6_424 Depth=3
	s_and_not1_saveexec_b32 s27, s13
	s_cbranch_execnz .LBB6_489
	s_branch .LBB6_492
.LBB6_482:                              ;   in Loop: Header=BB6_424 Depth=3
	s_or_b32 exec_lo, exec_lo, s60
	s_and_saveexec_b32 s60, s61
	s_delay_alu instid0(SALU_CYCLE_1)
	s_xor_b32 s60, exec_lo, s60
	s_cbranch_execz .LBB6_484
; %bb.483:                              ;   in Loop: Header=BB6_424 Depth=3
	ds_store_b32 v0, v59
	s_trap 2
.LBB6_484:                              ;   in Loop: Header=BB6_424 Depth=3
	s_or_b32 exec_lo, exec_lo, s41
	;;#ASMSTART
	s_wakeup
	;;#ASMEND
.LBB6_485:                              ;   in Loop: Header=BB6_424 Depth=3
	s_or_b32 exec_lo, exec_lo, s40
.LBB6_486:                              ;   in Loop: Header=BB6_424 Depth=3
	s_and_not1_saveexec_b32 s27, s27
	s_cbranch_execz .LBB6_488
; %bb.487:                              ;   in Loop: Header=BB6_424 Depth=3
	;;#ASMSTART
	s_waitcnt lgkmcnt(0) vmcnt(0)
	;;#ASMEND
	s_barrier_signal -1
	s_barrier_wait -1
.LBB6_488:                              ;   in Loop: Header=BB6_424 Depth=3
	s_or_b32 exec_lo, exec_lo, s27
	v_and_b32_e32 v2, 16, v30
	s_and_not1_saveexec_b32 s27, s13
	s_cbranch_execz .LBB6_492
.LBB6_489:                              ;   in Loop: Header=BB6_424 Depth=3
	s_trap 2
	ds_load_b32 v2, v0
	v_cmp_lt_i32_e32 vcc_lo, 0, v8
	s_wait_dscnt 0x0
	v_readfirstlane_b32 s13, v2
	v_and_b32_e32 v2, 16, v30
	s_cmp_eq_u32 s13, 0
	s_delay_alu instid0(VALU_DEP_1) | instskip(SKIP_3) | instid1(SALU_CYCLE_1)
	v_cmp_ne_u32_e64 s13, 0, v2
	s_cselect_b32 s40, -1, 0
	v_and_b32_e32 v2, 16, v30
	s_and_b32 s40, vcc_lo, s40
	s_and_b32 s40, s13, s40
	s_delay_alu instid0(SALU_CYCLE_1)
	s_and_saveexec_b32 s13, s40
	s_cbranch_execz .LBB6_491
; %bb.490:                              ;   in Loop: Header=BB6_424 Depth=3
	v_mov_b32_e32 v2, 1
	global_wb scope:SCOPE_SYS
	s_wait_loadcnt 0x0
	s_wait_storecnt 0x0
	global_inv scope:SCOPE_SYS
.LBB6_491:                              ;   in Loop: Header=BB6_424 Depth=3
	s_or_b32 exec_lo, exec_lo, s13
.LBB6_492:                              ;   in Loop: Header=BB6_424 Depth=3
	s_delay_alu instid0(SALU_CYCLE_1) | instskip(NEXT) | instid1(VALU_DEP_1)
	s_or_b32 exec_lo, exec_lo, s27
	v_cmp_ne_u32_e32 vcc_lo, 0, v2
	s_xor_b32 s13, s4, -1
	s_delay_alu instid0(SALU_CYCLE_1) | instskip(NEXT) | instid1(SALU_CYCLE_1)
	s_and_b32 s27, vcc_lo, s13
	s_and_saveexec_b32 s13, s27
	s_cbranch_execz .LBB6_494
; %bb.493:                              ;   in Loop: Header=BB6_424 Depth=3
	global_wb scope:SCOPE_SYS
	s_wait_storecnt 0x0
	s_wait_loadcnt_dscnt 0x0
	flat_store_b32 v[26:27], v59 scope:SCOPE_SYS
.LBB6_494:                              ;   in Loop: Header=BB6_424 Depth=3
	s_wait_xcnt 0x0
	s_or_b32 exec_lo, exec_lo, s13
	v_and_b32_e32 v2, 48, v30
	s_mov_b32 s13, exec_lo
	s_delay_alu instid0(VALU_DEP_1)
	v_cmpx_ne_u32_e32 0, v2
	s_cbranch_execz .LBB6_423
; %bb.495:                              ;   in Loop: Header=BB6_424 Depth=3
	v_add_nc_u64_e32 v[96:97], 2, v[96:97]
	global_wb scope:SCOPE_SYS
	s_wait_storecnt 0x0
	s_wait_loadcnt_dscnt 0x0
	flat_store_b64 v[20:21], v[96:97] scope:SCOPE_SYS
	s_branch .LBB6_423
.LBB6_496:                              ;   in Loop: Header=BB6_47 Depth=1
	v_mul_u64_e32 v[8:9], s[16:17], v[86:87]
	v_mov_b32_e32 v112, 0
	s_delay_alu instid0(VALU_DEP_2) | instskip(NEXT) | instid1(VALU_DEP_1)
	v_sub_nc_u64_e32 v[10:11], v[98:99], v[8:9]
	v_min_i64 v[10:11], v[86:87], v[10:11]
	s_delay_alu instid0(VALU_DEP_1) | instskip(SKIP_1) | instid1(VALU_DEP_2)
	v_max_i32_e32 v72, 0, v10
	v_cmp_lt_i32_e32 vcc_lo, 0, v10
	v_add_nc_u32_e32 v2, 31, v72
	s_and_b32 s13, s57, vcc_lo
	s_delay_alu instid0(VALU_DEP_1) | instskip(NEXT) | instid1(VALU_DEP_1)
	v_lshrrev_b32_e32 v2, 1, v2
	v_and_b32_e32 v11, 0x3ffffff0, v2
	s_delay_alu instid0(VALU_DEP_1)
	v_dual_mov_b32 v2, 0 :: v_dual_max_i32 v102, s45, v11
	s_and_saveexec_b32 s18, s13
	s_cbranch_execz .LBB6_677
; %bb.497:                              ;   in Loop: Header=BB6_47 Depth=1
	v_add_nc_u64_e32 v[8:9], v[8:9], v[100:101]
	v_mov_b32_e32 v112, 0
	s_mov_b32 s61, 1
	s_mov_b32 s60, -1
	s_mov_b32 s27, 0
	s_delay_alu instid0(VALU_DEP_2)
	v_lshlrev_b64_e32 v[114:115], 2, v[8:9]
	s_branch .LBB6_499
.LBB6_498:                              ;   in Loop: Header=BB6_499 Depth=2
	s_wait_xcnt 0x0
	s_or_b32 exec_lo, exec_lo, s13
	v_dual_add_nc_u32 v112, v102, v112 :: v_dual_mov_b32 v2, s61
	s_xor_b32 s13, s60, -1
	s_mov_b32 s60, 0
	s_mov_b32 s61, 2
	s_delay_alu instid0(VALU_DEP_1) | instskip(SKIP_1) | instid1(SALU_CYCLE_1)
	v_cmp_ge_i32_e32 vcc_lo, v112, v72
	s_or_b32 s13, s13, vcc_lo
	s_and_b32 s13, exec_lo, s13
	s_delay_alu instid0(SALU_CYCLE_1) | instskip(NEXT) | instid1(SALU_CYCLE_1)
	s_or_b32 s27, s13, s27
	s_and_not1_b32 exec_lo, exec_lo, s27
	s_cbranch_execz .LBB6_676
.LBB6_499:                              ;   Parent Loop BB6_47 Depth=1
                                        ; =>  This Loop Header: Depth=2
                                        ;       Child Loop BB6_507 Depth 3
                                        ;       Child Loop BB6_535 Depth 3
	;; [unrolled: 1-line block ×5, first 2 shown]
                                        ;         Child Loop BB6_587 Depth 4
                                        ;       Child Loop BB6_596 Depth 3
                                        ;       Child Loop BB6_601 Depth 3
                                        ;         Child Loop BB6_602 Depth 4
                                        ;       Child Loop BB6_614 Depth 3
                                        ;       Child Loop BB6_619 Depth 3
                                        ;       Child Loop BB6_627 Depth 3
                                        ;       Child Loop BB6_632 Depth 3
                                        ;       Child Loop BB6_642 Depth 3
                                        ;       Child Loop BB6_661 Depth 3
	s_and_saveexec_b32 s13, s0
	s_cbranch_execz .LBB6_501
; %bb.500:                              ;   in Loop: Header=BB6_499 Depth=2
	s_trap 2
	ds_load_b64 v[16:17], v0
	ds_load_2addr_b64 v[8:11], v0 offset1:1
	s_wait_dscnt 0x1
	v_cmp_ne_u64_e32 vcc_lo, 0, v[16:17]
	v_ashrrev_i32_e32 v113, 31, v112
	v_add_nc_u64_e32 v[36:37], v[16:17], v[114:115]
	s_wait_dscnt 0x0
	v_add_nc_u64_e32 v[8:9], v[8:9], v[114:115]
	v_add_nc_u64_e32 v[10:11], v[10:11], v[114:115]
	v_lshlrev_b64_e32 v[18:19], 2, v[112:113]
	s_delay_alu instid0(VALU_DEP_1) | instskip(NEXT) | instid1(VALU_DEP_4)
	v_add_nc_u64_e32 v[36:37], v[36:37], v[18:19]
	v_add_nc_u64_e32 v[8:9], v[8:9], v[18:19]
	s_delay_alu instid0(VALU_DEP_4) | instskip(NEXT) | instid1(VALU_DEP_3)
	v_add_nc_u64_e32 v[10:11], v[10:11], v[18:19]
	v_dual_cndmask_b32 v17, 0, v37 :: v_dual_cndmask_b32 v16, 0, v36
	ds_store_b64 v0, v[8:9]
	ds_store_b64 v0, v[10:11]
	ds_store_b64 v0, v[16:17]
.LBB6_501:                              ;   in Loop: Header=BB6_499 Depth=2
	s_or_b32 exec_lo, exec_lo, s13
	v_dual_sub_nc_u32 v2, v72, v112 :: v_dual_bitop2_b32 v8, 12, v30 bitop3:0x40
	s_mov_b32 s14, exec_lo
	s_delay_alu instid0(VALU_DEP_1) | instskip(NEXT) | instid1(VALU_DEP_2)
	v_min_i32_e32 v102, v102, v2
	v_cmpx_ne_u32_e32 0, v8
	s_cbranch_execz .LBB6_527
; %bb.502:                              ;   in Loop: Header=BB6_499 Depth=2
	v_and_b32_e32 v2, 8, v30
	v_add_nc_u64_e32 v[8:9], 2, v[96:97]
	s_mov_b32 s15, exec_lo
	s_wait_loadcnt_dscnt 0x1
	s_delay_alu instid0(VALU_DEP_2) | instskip(NEXT) | instid1(VALU_DEP_1)
	v_add_nc_u64_e32 v[10:11], v[28:29], v[2:3]
	v_cmpx_lt_u64_e64 v[10:11], v[8:9]
	s_cbranch_execz .LBB6_514
; %bb.503:                              ;   in Loop: Header=BB6_499 Depth=2
	v_and_b32_e32 v10, 64, v30
	s_mov_b32 s40, 0
	s_mov_b32 s72, 0
                                        ; implicit-def: $sgpr41
                                        ; implicit-def: $sgpr62
                                        ; implicit-def: $sgpr63
	s_delay_alu instid0(VALU_DEP_1)
	v_cmp_eq_u32_e32 vcc_lo, 0, v10
	s_branch .LBB6_507
.LBB6_504:                              ;   in Loop: Header=BB6_507 Depth=3
	s_wait_loadcnt_dscnt 0x0
	v_add_nc_u64_e32 v[16:17], v[28:29], v[2:3]
	s_or_b32 s75, s75, exec_lo
	s_delay_alu instid0(VALU_DEP_1)
	v_cmp_ge_u64_e64 s13, v[16:17], v[8:9]
	s_or_not1_b32 s74, s13, exec_lo
.LBB6_505:                              ;   in Loop: Header=BB6_507 Depth=3
	s_or_b32 exec_lo, exec_lo, s77
	s_delay_alu instid0(SALU_CYCLE_1)
	s_and_not1_b32 s13, s63, exec_lo
	s_and_b32 s63, s75, exec_lo
	s_and_not1_b32 s62, s62, exec_lo
	s_and_b32 s74, s74, exec_lo
	s_or_b32 s63, s13, s63
	s_or_b32 s62, s62, s74
.LBB6_506:                              ;   in Loop: Header=BB6_507 Depth=3
	s_or_b32 exec_lo, exec_lo, s73
	s_delay_alu instid0(SALU_CYCLE_1) | instskip(NEXT) | instid1(SALU_CYCLE_1)
	s_and_b32 s13, exec_lo, s62
	s_or_b32 s40, s13, s40
	s_and_not1_b32 s13, s41, exec_lo
	s_and_b32 s41, s63, exec_lo
	s_delay_alu instid0(SALU_CYCLE_1)
	s_or_b32 s41, s13, s41
	s_and_not1_b32 exec_lo, exec_lo, s40
	s_cbranch_execz .LBB6_511
.LBB6_507:                              ;   Parent Loop BB6_47 Depth=1
                                        ;     Parent Loop BB6_499 Depth=2
                                        ; =>    This Inner Loop Header: Depth=3
	s_sleep 1
	s_wait_loadcnt_dscnt 0x0
	flat_load_b64 v[28:29], v[20:21] scope:SCOPE_SYS
	s_or_b32 s63, s63, exec_lo
	s_or_b32 s62, s62, exec_lo
                                        ; implicit-def: $vgpr10
	s_wait_xcnt 0x0
	s_and_saveexec_b32 s73, vcc_lo
	s_cbranch_execz .LBB6_506
; %bb.508:                              ;   in Loop: Header=BB6_507 Depth=3
	s_cmp_lt_i32 s72, 0x270f
	s_mov_b32 s74, -1
	s_cselect_b32 s76, -1, 0
	s_cmp_gt_i32 s72, 0x270e
	s_cbranch_scc0 .LBB6_510
; %bb.509:                              ;   in Loop: Header=BB6_507 Depth=3
	s_trap 2
	ds_load_b64 v[10:11], v0
	s_and_not1_b32 s72, s76, exec_lo
	s_mov_b32 s75, 0
	s_wait_storecnt 0x0
	s_wait_loadcnt_dscnt 0x0
	flat_load_b32 v10, v[10:11] scope:SCOPE_SYS
	s_wait_loadcnt_dscnt 0x0
	global_inv scope:SCOPE_SYS
	v_cmp_eq_u32_e64 s13, 0, v10
	s_and_b32 s13, s13, exec_lo
	s_delay_alu instid0(SALU_CYCLE_1)
	s_or_b32 s76, s72, s13
	s_mov_b32 s72, 0
	s_and_saveexec_b32 s77, s76
	s_cbranch_execz .LBB6_505
	s_branch .LBB6_504
.LBB6_510:                              ;   in Loop: Header=BB6_507 Depth=3
	s_add_co_i32 s72, s72, 1
	s_mov_b32 s75, -1
                                        ; implicit-def: $vgpr10
	s_and_saveexec_b32 s77, s76
	s_cbranch_execz .LBB6_505
	s_branch .LBB6_504
.LBB6_511:                              ;   in Loop: Header=BB6_499 Depth=2
	s_or_b32 exec_lo, exec_lo, s40
	s_xor_b32 s13, s41, -1
	s_delay_alu instid0(SALU_CYCLE_1) | instskip(NEXT) | instid1(SALU_CYCLE_1)
	s_and_saveexec_b32 s40, s13
	s_xor_b32 s13, exec_lo, s40
	s_cbranch_execz .LBB6_513
; %bb.512:                              ;   in Loop: Header=BB6_499 Depth=2
	v_or_b32_e32 v30, 64, v30
	s_wait_storecnt 0x0
	s_wait_loadcnt_dscnt 0x0
	ds_store_b32 v0, v10
	s_trap 2
.LBB6_513:                              ;   in Loop: Header=BB6_499 Depth=2
	s_or_b32 exec_lo, exec_lo, s13
.LBB6_514:                              ;   in Loop: Header=BB6_499 Depth=2
	s_delay_alu instid0(SALU_CYCLE_1) | instskip(SKIP_2) | instid1(VALU_DEP_1)
	s_or_b32 exec_lo, exec_lo, s15
	v_and_b32_e32 v10, 0x108, v30
	;;#ASMSTART
	s_wakeup
	;;#ASMEND
	v_cmp_ne_u32_e32 vcc_lo, 0x108, v10
                                        ; implicit-def: $vgpr10_vgpr11
	s_and_saveexec_b32 s13, vcc_lo
	s_delay_alu instid0(SALU_CYCLE_1)
	s_xor_b32 s13, exec_lo, s13
; %bb.515:                              ;   in Loop: Header=BB6_499 Depth=2
	v_dual_mov_b32 v11, v3 :: v_dual_bitop2_b32 v10, 7, v96 bitop3:0x40
                                        ; implicit-def: $vgpr96_vgpr97
; %bb.516:                              ;   in Loop: Header=BB6_499 Depth=2
	s_and_not1_saveexec_b32 s13, s13
	s_cbranch_execz .LBB6_518
; %bb.517:                              ;   in Loop: Header=BB6_499 Depth=2
	v_dual_ashrrev_i32 v103, 31, v102 :: v_dual_bitop2_b32 v10, 7, v96 bitop3:0x40
	v_mov_b32_e32 v11, v3
	s_delay_alu instid0(VALU_DEP_2) | instskip(NEXT) | instid1(VALU_DEP_3)
	v_mad_nc_u64_u32 v[16:17], v10, 24, v[6:7]
	v_lshlrev_b64_e32 v[18:19], 2, v[102:103]
	flat_store_b64 v[16:17], v[18:19] offset:8
.LBB6_518:                              ;   in Loop: Header=BB6_499 Depth=2
	s_wait_xcnt 0x0
	s_or_b32 exec_lo, exec_lo, s13
	v_and_b32_e32 v16, 0x100, v30
	s_mov_b32 s13, -1
	s_mov_b32 s15, exec_lo
                                        ; implicit-def: $vgpr96_vgpr97
	s_delay_alu instid0(VALU_DEP_1)
	v_cmpx_ne_u32_e32 0, v16
	s_cbranch_execz .LBB6_522
; %bb.519:                              ;   in Loop: Header=BB6_499 Depth=2
	v_mad_nc_u64_u32 v[116:117], v10, 24, v[6:7]
	s_mov_b32 s40, exec_lo
                                        ; implicit-def: $vgpr96_vgpr97
	s_delay_alu instid0(VALU_DEP_1)
	v_mad_u32 v117, v11, 24, v117
	flat_load_b32 v16, v[116:117]
	s_wait_loadcnt_dscnt 0x0
	v_cmp_ne_u32_e32 vcc_lo, 1, v16
	s_wait_xcnt 0x0
	v_cmpx_eq_u32_e32 1, v16
	s_cbranch_execz .LBB6_521
; %bb.520:                              ;   in Loop: Header=BB6_499 Depth=2
	flat_load_b32 v16, v[116:117] offset:4 scope:SCOPE_SYS
	s_wait_loadcnt_dscnt 0x0
	v_ashrrev_i32_e32 v17, 31, v16
	s_delay_alu instid0(VALU_DEP_1)
	v_lshrrev_b64 v[96:97], 2, v[16:17]
.LBB6_521:                              ;   in Loop: Header=BB6_499 Depth=2
	s_wait_xcnt 0x0
	s_or_b32 exec_lo, exec_lo, s40
	s_delay_alu instid0(SALU_CYCLE_1)
	s_or_not1_b32 s13, vcc_lo, exec_lo
.LBB6_522:                              ;   in Loop: Header=BB6_499 Depth=2
	s_or_b32 exec_lo, exec_lo, s15
	s_and_saveexec_b32 s15, s13
; %bb.523:                              ;   in Loop: Header=BB6_499 Depth=2
	v_mul_u64_e32 v[96:97], v[10:11], v[22:23]
; %bb.524:                              ;   in Loop: Header=BB6_499 Depth=2
	s_or_b32 exec_lo, exec_lo, s15
	v_cmp_eq_u32_e32 vcc_lo, 0, v2
	v_and_b32_e32 v16, 0x2000, v30
	s_delay_alu instid0(VALU_DEP_3) | instskip(SKIP_2) | instid1(VALU_DEP_1)
	v_lshl_add_u64 v[10:11], v[96:97], 2, v[24:25]
	s_mov_b32 s13, exec_lo
	v_cndmask_b32_e32 v2, 0xd0, v60, vcc_lo
	v_add_nc_u32_e32 v2, v0, v2
	ds_store_b64 v2, v[10:11] offset:584
	v_cmpx_ne_u32_e32 0, v16
	s_cbranch_execz .LBB6_526
; %bb.525:                              ;   in Loop: Header=BB6_499 Depth=2
	ds_load_b64 v[10:11], v0 offset:872
	s_wait_dscnt 0x0
	v_add_nc_u64_e32 v[10:11], 1, v[10:11]
	ds_store_b64 v0, v[10:11] offset:872
.LBB6_526:                              ;   in Loop: Header=BB6_499 Depth=2
	s_or_b32 exec_lo, exec_lo, s13
	v_mov_b64_e32 v[96:97], v[8:9]
.LBB6_527:                              ;   in Loop: Header=BB6_499 Depth=2
	s_or_b32 exec_lo, exec_lo, s14
	s_and_saveexec_b32 s13, s2
	s_cbranch_execz .LBB6_546
; %bb.528:                              ;   in Loop: Header=BB6_499 Depth=2
	s_and_saveexec_b32 s14, s3
	s_delay_alu instid0(SALU_CYCLE_1)
	s_xor_b32 s14, exec_lo, s14
	s_cbranch_execz .LBB6_543
; %bb.529:                              ;   in Loop: Header=BB6_499 Depth=2
	s_and_saveexec_b32 s15, s6
	s_cbranch_execz .LBB6_542
; %bb.530:                              ;   in Loop: Header=BB6_499 Depth=2
	s_mov_b32 s41, exec_lo
	s_mov_b32 s40, exec_lo
	v_mbcnt_lo_u32_b32 v2, s41, 0
	global_wb scope:SCOPE_DEV
	s_wait_storecnt 0x0
	s_wait_loadcnt_dscnt 0x0
	global_inv scope:SCOPE_DEV
	v_cmpx_eq_u32_e32 0, v2
	s_cbranch_execz .LBB6_532
; %bb.531:                              ;   in Loop: Header=BB6_499 Depth=2
	s_bcnt1_i32_b32 s41, s41
	s_delay_alu instid0(SALU_CYCLE_1)
	v_mov_b32_e32 v2, s41
	s_wait_loadcnt 0x0
	ds_add_u64 v0, v[2:3]
	s_trap 2
.LBB6_532:                              ;   in Loop: Header=BB6_499 Depth=2
	s_or_b32 exec_lo, exec_lo, s40
	s_trap 2
	ds_load_b64 v[8:9], v0
	s_wait_dscnt 0x0
	v_add_nc_u64_e32 v[12:13], v[12:13], v[32:33]
	s_mov_b32 s40, exec_lo
	s_delay_alu instid0(VALU_DEP_1)
	v_cmpx_lt_u64_e64 v[8:9], v[12:13]
	s_cbranch_execz .LBB6_541
; %bb.533:                              ;   in Loop: Header=BB6_499 Depth=2
	s_mov_b32 s41, 0
	s_mov_b32 s72, 0
                                        ; implicit-def: $sgpr62
                                        ; implicit-def: $sgpr63
	s_branch .LBB6_535
.LBB6_534:                              ;   in Loop: Header=BB6_535 Depth=3
	s_or_b32 exec_lo, exec_lo, s74
	s_delay_alu instid0(SALU_CYCLE_1) | instskip(NEXT) | instid1(SALU_CYCLE_1)
	s_and_b32 s73, exec_lo, s75
	s_or_b32 s41, s73, s41
	s_and_not1_b32 s62, s62, exec_lo
	s_and_b32 s73, s63, exec_lo
	s_delay_alu instid0(SALU_CYCLE_1)
	s_or_b32 s62, s62, s73
	s_and_not1_b32 exec_lo, exec_lo, s41
	s_cbranch_execz .LBB6_539
.LBB6_535:                              ;   Parent Loop BB6_47 Depth=1
                                        ;     Parent Loop BB6_499 Depth=2
                                        ; =>    This Inner Loop Header: Depth=3
	s_add_co_i32 s72, s72, 1
	s_delay_alu instid0(SALU_CYCLE_1) | instskip(SKIP_1) | instid1(SALU_CYCLE_1)
	s_cmp_lg_u32 s72, 0x2710
	s_cselect_b32 s73, -1, 0
	s_and_b32 vcc_lo, exec_lo, s73
	s_cbranch_vccz .LBB6_537
; %bb.536:                              ;   in Loop: Header=BB6_535 Depth=3
	s_mov_b32 s75, -1
	s_or_b32 s63, s63, exec_lo
	s_and_saveexec_b32 s74, s73
	s_cbranch_execz .LBB6_534
	s_branch .LBB6_538
.LBB6_537:                              ;   in Loop: Header=BB6_535 Depth=3
	s_trap 2
	ds_load_b64 v[8:9], v0
	s_and_not1_b32 s73, s73, exec_lo
	s_mov_b32 s72, 0
	s_wait_loadcnt_dscnt 0x0
	flat_load_b32 v2, v[8:9] scope:SCOPE_SYS
	s_wait_loadcnt_dscnt 0x0
	global_inv scope:SCOPE_SYS
	v_cmp_eq_u32_e32 vcc_lo, 0, v2
	s_and_b32 s74, vcc_lo, exec_lo
	s_delay_alu instid0(SALU_CYCLE_1)
	s_or_b32 s73, s73, s74
	s_mov_b32 s75, -1
	s_or_b32 s63, s63, exec_lo
	s_and_saveexec_b32 s74, s73
	s_cbranch_execz .LBB6_534
.LBB6_538:                              ;   in Loop: Header=BB6_535 Depth=3
	s_sleep 1
	s_trap 2
	ds_load_b64 v[8:9], v0
	s_wait_dscnt 0x0
	s_and_not1_b32 s63, s63, exec_lo
	v_cmp_ge_u64_e32 vcc_lo, v[8:9], v[12:13]
	s_or_not1_b32 s75, vcc_lo, exec_lo
	s_branch .LBB6_534
.LBB6_539:                              ;   in Loop: Header=BB6_499 Depth=2
	s_or_b32 exec_lo, exec_lo, s41
	s_and_saveexec_b32 s41, s62
	s_delay_alu instid0(SALU_CYCLE_1)
	s_xor_b32 s41, exec_lo, s41
	s_cbranch_execz .LBB6_541
; %bb.540:                              ;   in Loop: Header=BB6_499 Depth=2
	ds_store_b32 v0, v59
	s_trap 2
.LBB6_541:                              ;   in Loop: Header=BB6_499 Depth=2
	s_or_b32 exec_lo, exec_lo, s40
	;;#ASMSTART
	s_wakeup
	;;#ASMEND
.LBB6_542:                              ;   in Loop: Header=BB6_499 Depth=2
	s_or_b32 exec_lo, exec_lo, s15
.LBB6_543:                              ;   in Loop: Header=BB6_499 Depth=2
	s_and_not1_saveexec_b32 s14, s14
	s_cbranch_execz .LBB6_545
; %bb.544:                              ;   in Loop: Header=BB6_499 Depth=2
	global_wb scope:SCOPE_DEV
	s_wait_storecnt 0x0
	s_wait_loadcnt_dscnt 0x0
	global_inv scope:SCOPE_DEV
	s_barrier_signal -1
	s_barrier_wait -1
.LBB6_545:                              ;   in Loop: Header=BB6_499 Depth=2
	s_or_b32 exec_lo, exec_lo, s14
.LBB6_546:                              ;   in Loop: Header=BB6_499 Depth=2
	s_delay_alu instid0(SALU_CYCLE_1) | instskip(SKIP_4) | instid1(VALU_DEP_1)
	s_or_b32 exec_lo, exec_lo, s13
	s_trap 2
	ds_load_b32 v8, v0
	v_and_b32_e32 v2, 0x4000, v30
	s_xor_b32 s13, s1, -1
	v_cmp_ne_u32_e32 vcc_lo, 0, v2
	s_and_b32 s14, s13, vcc_lo
	s_delay_alu instid0(SALU_CYCLE_1)
	s_and_saveexec_b32 s13, s14
	s_cbranch_execz .LBB6_565
; %bb.547:                              ;   in Loop: Header=BB6_499 Depth=2
	s_and_saveexec_b32 s14, s3
	s_delay_alu instid0(SALU_CYCLE_1)
	s_xor_b32 s14, exec_lo, s14
	s_cbranch_execz .LBB6_562
; %bb.548:                              ;   in Loop: Header=BB6_499 Depth=2
	s_and_saveexec_b32 s15, s6
	s_cbranch_execz .LBB6_561
; %bb.549:                              ;   in Loop: Header=BB6_499 Depth=2
	s_mov_b32 s41, exec_lo
	s_mov_b32 s40, exec_lo
	v_mbcnt_lo_u32_b32 v2, s41, 0
	global_wb scope:SCOPE_DEV
	s_wait_storecnt 0x0
	s_wait_loadcnt_dscnt 0x0
	global_inv scope:SCOPE_DEV
	v_cmpx_eq_u32_e32 0, v2
	s_cbranch_execz .LBB6_551
; %bb.550:                              ;   in Loop: Header=BB6_499 Depth=2
	s_bcnt1_i32_b32 s41, s41
	s_delay_alu instid0(SALU_CYCLE_1)
	v_mov_b32_e32 v2, s41
	s_wait_loadcnt 0x0
	ds_add_u64 v0, v[2:3]
	s_trap 2
.LBB6_551:                              ;   in Loop: Header=BB6_499 Depth=2
	s_or_b32 exec_lo, exec_lo, s40
	s_trap 2
	ds_load_b64 v[10:11], v0
	s_wait_dscnt 0x0
	v_add_nc_u64_e32 v[12:13], v[12:13], v[32:33]
	s_mov_b32 s40, exec_lo
	s_delay_alu instid0(VALU_DEP_1)
	v_cmpx_lt_u64_e64 v[10:11], v[12:13]
	s_cbranch_execz .LBB6_560
; %bb.552:                              ;   in Loop: Header=BB6_499 Depth=2
	s_mov_b32 s41, 0
	s_mov_b32 s72, 0
                                        ; implicit-def: $sgpr62
                                        ; implicit-def: $sgpr63
	s_branch .LBB6_554
.LBB6_553:                              ;   in Loop: Header=BB6_554 Depth=3
	s_or_b32 exec_lo, exec_lo, s74
	s_delay_alu instid0(SALU_CYCLE_1) | instskip(NEXT) | instid1(SALU_CYCLE_1)
	s_and_b32 s73, exec_lo, s75
	s_or_b32 s41, s73, s41
	s_and_not1_b32 s62, s62, exec_lo
	s_and_b32 s73, s63, exec_lo
	s_delay_alu instid0(SALU_CYCLE_1)
	s_or_b32 s62, s62, s73
	s_and_not1_b32 exec_lo, exec_lo, s41
	s_cbranch_execz .LBB6_558
.LBB6_554:                              ;   Parent Loop BB6_47 Depth=1
                                        ;     Parent Loop BB6_499 Depth=2
                                        ; =>    This Inner Loop Header: Depth=3
	s_add_co_i32 s72, s72, 1
	s_delay_alu instid0(SALU_CYCLE_1) | instskip(SKIP_1) | instid1(SALU_CYCLE_1)
	s_cmp_lg_u32 s72, 0x2710
	s_cselect_b32 s73, -1, 0
	s_and_b32 vcc_lo, exec_lo, s73
	s_cbranch_vccz .LBB6_556
; %bb.555:                              ;   in Loop: Header=BB6_554 Depth=3
	s_mov_b32 s75, -1
	s_or_b32 s63, s63, exec_lo
	s_and_saveexec_b32 s74, s73
	s_cbranch_execz .LBB6_553
	s_branch .LBB6_557
.LBB6_556:                              ;   in Loop: Header=BB6_554 Depth=3
	s_trap 2
	ds_load_b64 v[10:11], v0
	s_and_not1_b32 s73, s73, exec_lo
	s_mov_b32 s72, 0
	s_wait_loadcnt_dscnt 0x0
	flat_load_b32 v2, v[10:11] scope:SCOPE_SYS
	s_wait_loadcnt_dscnt 0x0
	global_inv scope:SCOPE_SYS
	v_cmp_eq_u32_e32 vcc_lo, 0, v2
	s_and_b32 s74, vcc_lo, exec_lo
	s_delay_alu instid0(SALU_CYCLE_1)
	s_or_b32 s73, s73, s74
	s_mov_b32 s75, -1
	s_or_b32 s63, s63, exec_lo
	s_and_saveexec_b32 s74, s73
	s_cbranch_execz .LBB6_553
.LBB6_557:                              ;   in Loop: Header=BB6_554 Depth=3
	s_sleep 1
	s_trap 2
	ds_load_b64 v[10:11], v0
	s_wait_dscnt 0x0
	s_and_not1_b32 s63, s63, exec_lo
	v_cmp_ge_u64_e32 vcc_lo, v[10:11], v[12:13]
	s_or_not1_b32 s75, vcc_lo, exec_lo
	s_branch .LBB6_553
.LBB6_558:                              ;   in Loop: Header=BB6_499 Depth=2
	s_or_b32 exec_lo, exec_lo, s41
	s_and_saveexec_b32 s41, s62
	s_delay_alu instid0(SALU_CYCLE_1)
	s_xor_b32 s41, exec_lo, s41
	s_cbranch_execz .LBB6_560
; %bb.559:                              ;   in Loop: Header=BB6_499 Depth=2
	ds_store_b32 v0, v59
	s_trap 2
.LBB6_560:                              ;   in Loop: Header=BB6_499 Depth=2
	s_or_b32 exec_lo, exec_lo, s40
	;;#ASMSTART
	s_wakeup
	;;#ASMEND
.LBB6_561:                              ;   in Loop: Header=BB6_499 Depth=2
	s_or_b32 exec_lo, exec_lo, s15
.LBB6_562:                              ;   in Loop: Header=BB6_499 Depth=2
	s_and_not1_saveexec_b32 s14, s14
	s_cbranch_execz .LBB6_564
; %bb.563:                              ;   in Loop: Header=BB6_499 Depth=2
	global_wb scope:SCOPE_DEV
	s_wait_storecnt 0x0
	s_wait_loadcnt_dscnt 0x0
	global_inv scope:SCOPE_DEV
	s_barrier_signal -1
	s_barrier_wait -1
.LBB6_564:                              ;   in Loop: Header=BB6_499 Depth=2
	s_or_b32 exec_lo, exec_lo, s14
.LBB6_565:                              ;   in Loop: Header=BB6_499 Depth=2
	s_delay_alu instid0(SALU_CYCLE_1)
	s_or_b32 exec_lo, exec_lo, s13
	s_trap 2
	ds_load_b64 v[116:117], v0
	s_wait_dscnt 0x0
	v_cmp_eq_u64_e32 vcc_lo, 0, v[116:117]
	s_cbranch_vccnz .LBB6_574
; %bb.566:                              ;   in Loop: Header=BB6_499 Depth=2
	s_trap 2
	ds_load_b64 v[118:119], v0
	s_wait_dscnt 0x0
	v_cmp_eq_u64_e32 vcc_lo, 0, v[118:119]
	s_cbranch_vccnz .LBB6_574
; %bb.567:                              ;   in Loop: Header=BB6_499 Depth=2
	s_trap 2
	ds_load_b64 v[40:41], v0
	v_cmp_eq_u32_e32 vcc_lo, 0, v8
	s_mov_b32 s13, -1
	v_cndmask_b32_e32 v2, 0, v102, vcc_lo
	s_delay_alu instid0(VALU_DEP_1)
	v_lshlrev_b32_e32 v103, 2, v2
	s_wait_dscnt 0x0
	v_cmp_ne_u64_e32 vcc_lo, 0, v[40:41]
	s_cbranch_vccz .LBB6_605
; %bb.568:                              ;   in Loop: Header=BB6_499 Depth=2
	s_and_saveexec_b32 s14, s12
	s_cbranch_execz .LBB6_570
; %bb.569:                              ;   in Loop: Header=BB6_499 Depth=2
	ds_load_b32 v8, v0 offset:720
	s_wait_dscnt 0x0
	v_and_b32_e32 v8, 15, v8
	s_delay_alu instid0(VALU_DEP_1)
	v_cmp_eq_u32_e32 vcc_lo, 0, v8
	s_or_not1_b32 s13, vcc_lo, exec_lo
.LBB6_570:                              ;   in Loop: Header=BB6_499 Depth=2
	s_or_b32 exec_lo, exec_lo, s14
	s_and_saveexec_b32 s14, s12
	s_cbranch_execz .LBB6_572
; %bb.571:                              ;   in Loop: Header=BB6_499 Depth=2
	ds_load_b32 v8, v0 offset:784
	s_wait_dscnt 0x0
	v_and_b32_e32 v8, 15, v8
	s_delay_alu instid0(VALU_DEP_1) | instskip(SKIP_3) | instid1(SALU_CYCLE_1)
	v_cmp_eq_u32_e32 vcc_lo, 0, v8
	s_and_b32 s15, s13, vcc_lo
	s_and_not1_b32 s13, s13, exec_lo
	s_and_b32 s15, s15, exec_lo
	s_or_b32 s13, s13, s15
.LBB6_572:                              ;   in Loop: Header=BB6_499 Depth=2
	s_or_b32 exec_lo, exec_lo, s14
	s_xor_b32 s13, s13, -1
	v_dual_mov_b32 v113, 0 :: v_dual_mov_b32 v46, v103
	v_cndmask_b32_e64 v8, 0, 1, s13
	v_mov_b32_e32 v47, v0
	s_mov_b32 s13, -1
	s_delay_alu instid0(VALU_DEP_2)
	v_cmp_ne_u32_e32 vcc_lo, 0, v8
	v_mov_b32_e32 v8, v62
	s_cbranch_vccz .LBB6_579
; %bb.573:                              ;   in Loop: Header=BB6_499 Depth=2
	s_and_saveexec_b32 s15, s13
	s_cbranch_execnz .LBB6_594
	s_branch .LBB6_604
.LBB6_574:                              ;   in Loop: Header=BB6_499 Depth=2
	s_mov_b32 s13, 0
	s_and_saveexec_b32 s14, s2
	s_cbranch_execnz .LBB6_635
.LBB6_575:                              ;   in Loop: Header=BB6_499 Depth=2
	s_or_b32 exec_lo, exec_lo, s14
                                        ; implicit-def: $vgpr2
	s_and_saveexec_b32 s14, s10
	s_delay_alu instid0(SALU_CYCLE_1)
	s_xor_b32 s14, exec_lo, s14
	s_cbranch_execz .LBB6_653
.LBB6_576:                              ;   in Loop: Header=BB6_499 Depth=2
	v_and_b32_e32 v2, 16, v30
	s_delay_alu instid0(VALU_DEP_1) | instskip(SKIP_2) | instid1(SALU_CYCLE_1)
	v_cmp_ne_u32_e32 vcc_lo, 0, v2
	v_and_b32_e32 v2, 16, v30
	s_and_b32 s15, vcc_lo, s13
	s_and_saveexec_b32 s13, s15
	s_cbranch_execz .LBB6_578
; %bb.577:                              ;   in Loop: Header=BB6_499 Depth=2
	v_mov_b32_e32 v2, 1
	global_wb scope:SCOPE_SYS
	s_wait_storecnt 0x0
	s_wait_loadcnt_dscnt 0x0
	global_inv scope:SCOPE_SYS
.LBB6_578:                              ;   in Loop: Header=BB6_499 Depth=2
	s_or_b32 exec_lo, exec_lo, s13
	s_and_not1_saveexec_b32 s13, s14
	s_cbranch_execz .LBB6_672
	s_branch .LBB6_654
.LBB6_579:                              ;   in Loop: Header=BB6_499 Depth=2
	v_ashrrev_i32_e32 v8, 31, v103
	s_mov_b32 s13, exec_lo
	s_delay_alu instid0(VALU_DEP_1) | instskip(NEXT) | instid1(VALU_DEP_1)
	v_lshrrev_b32_e32 v8, 21, v8
	v_add_nc_u32_e32 v8, v103, v8
	s_delay_alu instid0(VALU_DEP_1) | instskip(NEXT) | instid1(VALU_DEP_1)
	v_ashrrev_i32_e32 v113, 11, v8
	v_sub_nc_u32_e32 v56, v113, v62
	s_delay_alu instid0(VALU_DEP_1)
	v_cmpx_lt_i32_e32 0, v56
	s_cbranch_execz .LBB6_583
; %bb.580:                              ;   in Loop: Header=BB6_499 Depth=2
	s_trap 2
	ds_load_b64 v[16:17], v0
	v_add_nc_u64_e32 v[8:9], v[118:119], v[84:85]
	v_add_nc_u64_e32 v[10:11], v[40:41], v[84:85]
	;; [unrolled: 1-line block ×3, first 2 shown]
	s_mov_b32 s14, 0
	s_wait_dscnt 0x0
	v_add_nc_u64_e32 v[44:45], v[16:17], v[84:85]
.LBB6_581:                              ;   Parent Loop BB6_47 Depth=1
                                        ;     Parent Loop BB6_499 Depth=2
                                        ; =>    This Inner Loop Header: Depth=3
	global_load_b128 v[16:19], v[44:45], off th:TH_LOAD_NT
	s_clause 0x1
	global_load_b128 v[36:39], v[42:43], off th:TH_LOAD_NT
	global_load_b128 v[74:77], v[42:43], off offset:512 th:TH_LOAD_NT
	s_clause 0x1
	global_load_b128 v[88:91], v[44:45], off offset:512 th:TH_LOAD_NT
	global_load_b128 v[92:95], v[44:45], off offset:1024 th:TH_LOAD_NT
	s_clause 0x1
	global_load_b128 v[104:107], v[42:43], off offset:1024 th:TH_LOAD_NT
	global_load_b128 v[108:111], v[42:43], off offset:1536 th:TH_LOAD_NT
	global_load_b128 v[120:123], v[44:45], off offset:1536 th:TH_LOAD_NT
	v_sub_nc_u32_e32 v56, v56, v32
	s_wait_xcnt 0x1
	v_add_nc_u64_e32 v[42:43], v[42:43], v[64:65]
	s_wait_xcnt 0x0
	v_add_nc_u64_e32 v[44:45], v[44:45], v[64:65]
	s_wait_loadcnt 0x6
	v_dual_mul_f32 v16, v36, v16 :: v_dual_mul_f32 v18, v38, v18
	v_dual_mul_f32 v17, v37, v17 :: v_dual_mul_f32 v19, v39, v19
	s_wait_loadcnt 0x4
	v_dual_mul_f32 v36, v74, v88 :: v_dual_mul_f32 v37, v75, v89
	v_dual_mul_f32 v38, v76, v90 :: v_dual_mul_f32 v39, v77, v91
	;; [unrolled: 3-line block ×4, first 2 shown]
	v_cmp_gt_i32_e32 vcc_lo, 1, v56
	s_clause 0x3
	global_store_b128 v[8:9], v[16:19], off th:TH_STORE_NT
	global_store_b128 v[8:9], v[36:39], off offset:512 th:TH_STORE_NT
	global_store_b128 v[8:9], v[74:77], off offset:1024 th:TH_STORE_NT
	;; [unrolled: 1-line block ×3, first 2 shown]
	s_clause 0x3
	global_store_b128 v[10:11], v[16:19], off th:TH_STORE_NT
	global_store_b128 v[10:11], v[36:39], off offset:512 th:TH_STORE_NT
	global_store_b128 v[10:11], v[74:77], off offset:1024 th:TH_STORE_NT
	;; [unrolled: 1-line block ×3, first 2 shown]
	s_wait_xcnt 0x4
	v_add_nc_u64_e32 v[8:9], v[8:9], v[64:65]
	s_wait_xcnt 0x0
	v_add_nc_u64_e32 v[10:11], v[10:11], v[64:65]
	s_or_b32 s14, vcc_lo, s14
	s_delay_alu instid0(SALU_CYCLE_1)
	s_and_not1_b32 exec_lo, exec_lo, s14
	s_cbranch_execnz .LBB6_581
; %bb.582:                              ;   in Loop: Header=BB6_499 Depth=2
	s_or_b32 exec_lo, exec_lo, s14
.LBB6_583:                              ;   in Loop: Header=BB6_499 Depth=2
	s_delay_alu instid0(SALU_CYCLE_1) | instskip(SKIP_3) | instid1(VALU_DEP_1)
	s_or_b32 exec_lo, exec_lo, s13
	v_dual_lshlrev_b32 v73, 11, v113 :: v_dual_mov_b32 v113, 0
	s_mov_b32 s13, 0
	s_mov_b32 s62, exec_lo
                                        ; implicit-def: $vgpr46
                                        ; implicit-def: $vgpr47
                                        ; implicit-def: $vgpr8
	v_cmpx_ne_u32_e64 v103, v73
	s_cbranch_execz .LBB6_593
; %bb.584:                              ;   in Loop: Header=BB6_499 Depth=2
	v_dual_lshlrev_b32 v8, 5, v56 :: v_dual_sub_nc_u32 v10, v103, v73
	s_mov_b32 s63, exec_lo
	s_delay_alu instid0(VALU_DEP_1) | instskip(NEXT) | instid1(VALU_DEP_1)
	v_dual_sub_nc_u32 v8, v63, v8 :: v_dual_ashrrev_i32 v11, 31, v10
	v_dual_ashrrev_i32 v9, 31, v8 :: v_dual_lshrrev_b32 v11, 23, v11
	s_delay_alu instid0(VALU_DEP_1) | instskip(NEXT) | instid1(VALU_DEP_1)
	v_lshrrev_b32_e32 v9, 27, v9
	v_add_nc_u32_e32 v9, v8, v9
	s_delay_alu instid0(VALU_DEP_1) | instskip(NEXT) | instid1(VALU_DEP_1)
	v_and_b32_e32 v16, 0xffffffe0, v9
	v_dual_add_nc_u32 v11, v10, v11 :: v_dual_sub_nc_u32 v75, v8, v16
	s_delay_alu instid0(VALU_DEP_1) | instskip(SKIP_1) | instid1(VALU_DEP_2)
	v_and_b32_e32 v74, 0xfffffe00, v11
	v_dual_ashrrev_i32 v9, 5, v9 :: v_dual_ashrrev_i32 v11, 9, v11
	v_dual_lshlrev_b32 v8, 4, v75 :: v_dual_sub_nc_u32 v76, v10, v74
	s_delay_alu instid0(VALU_DEP_1) | instskip(NEXT) | instid1(VALU_DEP_2)
	v_lshl_add_u32 v8, v9, 9, v8
	v_cmp_lt_i32_e64 s13, 15, v76
	s_delay_alu instid0(VALU_DEP_1) | instskip(NEXT) | instid1(VALU_DEP_1)
	v_add_co_ci_u32_e64 v11, null, 0, v11, s13
	v_dual_sub_nc_u32 v113, v10, v8 :: v_dual_sub_nc_u32 v77, v11, v9
	s_delay_alu instid0(VALU_DEP_1)
	v_cmpx_lt_i32_e32 15, v113
	s_cbranch_execz .LBB6_590
; %bb.585:                              ;   in Loop: Header=BB6_499 Depth=2
	s_trap 2
	ds_load_b64 v[10:11], v0
	v_add_nc_u32_e32 v8, v8, v73
	s_mov_b32 s72, 0
	s_delay_alu instid0(VALU_DEP_1) | instskip(NEXT) | instid1(VALU_DEP_1)
	v_ashrrev_i32_e32 v9, 31, v8
	v_add_nc_u64_e32 v[42:43], v[8:9], v[118:119]
	v_add_nc_u64_e32 v[44:45], v[8:9], v[40:41]
	;; [unrolled: 1-line block ×3, first 2 shown]
	s_wait_dscnt 0x0
	v_add_nc_u64_e32 v[56:57], v[10:11], v[8:9]
.LBB6_586:                              ;   Parent Loop BB6_47 Depth=1
                                        ;     Parent Loop BB6_499 Depth=2
                                        ; =>    This Loop Header: Depth=3
                                        ;         Child Loop BB6_587 Depth 4
	global_load_b128 v[8:11], v[46:47], off th:TH_LOAD_NT
	global_load_b128 v[16:19], v[56:57], off th:TH_LOAD_NT
	s_mov_b64 s[40:41], 0
	s_mov_b32 s73, -1
	s_wait_loadcnt 0x0
	v_dual_mul_f32 v8, v8, v16 :: v_dual_mul_f32 v9, v9, v17
	v_dual_mul_f32 v10, v10, v18 :: v_dual_mul_f32 v11, v11, v19
.LBB6_587:                              ;   Parent Loop BB6_47 Depth=1
                                        ;     Parent Loop BB6_499 Depth=2
                                        ;       Parent Loop BB6_586 Depth=3
                                        ; =>      This Inner Loop Header: Depth=4
	s_cmp_eq_u32 s40, 1
	s_cselect_b32 vcc_lo, -1, 0
	s_cmp_eq_u32 s40, 0
	s_wait_xcnt 0x0
	v_dual_cndmask_b32 v17, v43, v45 :: v_dual_cndmask_b32 v16, v42, v44
	s_cselect_b32 s14, -1, 0
	s_and_b32 s15, exec_lo, s73
	s_mov_b64 s[40:41], 1
	s_mov_b32 s73, 0
	v_add_nc_u64_e32 v[18:19], 0x200, v[16:17]
	global_store_b128 v[16:17], v[8:11], off th:TH_STORE_NT
	v_dual_cndmask_b32 v45, v45, v19 :: v_dual_cndmask_b32 v44, v44, v18
	v_dual_cndmask_b32 v43, v43, v19, s14 :: v_dual_cndmask_b32 v42, v42, v18, s14
	s_mov_b32 vcc_lo, s15
	s_cbranch_vccnz .LBB6_587
; %bb.588:                              ;   in Loop: Header=BB6_586 Depth=3
	v_sub_nc_u32_e32 v113, v113, v50
	s_wait_xcnt 0x2
	v_add_nc_u64_e32 v[46:47], v[46:47], v[70:71]
	s_wait_xcnt 0x1
	v_add_nc_u64_e32 v[56:57], v[56:57], v[70:71]
	v_add_nc_u64_e32 v[42:43], v[42:43], v[66:67]
	;; [unrolled: 1-line block ×3, first 2 shown]
	v_cmp_gt_i32_e32 vcc_lo, 16, v113
	v_sub_nc_u32_e32 v77, v77, v32
	s_or_b32 s72, vcc_lo, s72
	s_wait_xcnt 0x0
	s_and_not1_b32 exec_lo, exec_lo, s72
	s_cbranch_execnz .LBB6_586
; %bb.589:                              ;   in Loop: Header=BB6_499 Depth=2
	s_or_b32 exec_lo, exec_lo, s72
.LBB6_590:                              ;   in Loop: Header=BB6_499 Depth=2
	s_delay_alu instid0(SALU_CYCLE_1) | instskip(SKIP_3) | instid1(VALU_DEP_1)
	s_or_b32 exec_lo, exec_lo, s63
	v_dual_mov_b32 v113, 0 :: v_dual_bitop2_b32 v9, 12, v103 bitop3:0x40
	s_mov_b32 s14, 0
	s_mov_b32 s15, exec_lo
                                        ; implicit-def: $vgpr47
                                        ; implicit-def: $vgpr8
	v_cndmask_b32_e64 v46, v76, v9, s13
	s_delay_alu instid0(VALU_DEP_1)
	v_cmpx_ne_u32_e32 0, v46
	s_cbranch_execz .LBB6_592
; %bb.591:                              ;   in Loop: Header=BB6_499 Depth=2
	v_cmp_lt_i32_e32 vcc_lo, 0, v77
	s_mov_b32 s14, exec_lo
	v_dual_cndmask_b32 v8, 0, v32 :: v_dual_sub_nc_u32 v9, v76, v9
	s_delay_alu instid0(VALU_DEP_1) | instskip(NEXT) | instid1(VALU_DEP_2)
	v_cndmask_b32_e64 v9, 0, v9, s13
	v_sub_nc_u32_e32 v8, v8, v77
	s_delay_alu instid0(VALU_DEP_2) | instskip(NEXT) | instid1(VALU_DEP_2)
	v_add3_u32 v113, v74, v73, v9
	v_lshl_add_u32 v47, v8, 5, v75
	s_delay_alu instid0(VALU_DEP_1) | instskip(NEXT) | instid1(VALU_DEP_1)
	v_ashrrev_i32_e32 v8, 31, v47
	v_lshrrev_b32_e32 v8, 27, v8
	s_delay_alu instid0(VALU_DEP_1) | instskip(NEXT) | instid1(VALU_DEP_1)
	v_add_nc_u32_e32 v8, v47, v8
	v_ashrrev_i32_e32 v8, 5, v8
.LBB6_592:                              ;   in Loop: Header=BB6_499 Depth=2
	s_or_b32 exec_lo, exec_lo, s15
	s_delay_alu instid0(SALU_CYCLE_1)
	s_and_b32 s13, s14, exec_lo
.LBB6_593:                              ;   in Loop: Header=BB6_499 Depth=2
	s_or_b32 exec_lo, exec_lo, s62
	s_and_saveexec_b32 s15, s13
	s_cbranch_execz .LBB6_604
.LBB6_594:                              ;   in Loop: Header=BB6_499 Depth=2
	v_ashrrev_i32_e32 v9, 31, v46
	s_mov_b32 s13, exec_lo
	s_delay_alu instid0(VALU_DEP_1) | instskip(NEXT) | instid1(VALU_DEP_1)
	v_lshrrev_b32_e32 v9, 22, v9
	v_add_nc_u32_e32 v9, v46, v9
	s_delay_alu instid0(VALU_DEP_1) | instskip(NEXT) | instid1(VALU_DEP_1)
	v_dual_ashrrev_i32 v73, 10, v9 :: v_dual_ashrrev_i32 v9, 31, v47
	v_dual_sub_nc_u32 v56, v73, v8 :: v_dual_lshrrev_b32 v57, 27, v9
	s_delay_alu instid0(VALU_DEP_1)
	v_cmpx_lt_i32_e32 0, v56
	s_cbranch_execz .LBB6_598
; %bb.595:                              ;   in Loop: Header=BB6_499 Depth=2
	s_delay_alu instid0(VALU_DEP_2) | instskip(SKIP_4) | instid1(VALU_DEP_1)
	v_dual_add_nc_u32 v9, v47, v57 :: v_dual_lshlrev_b32 v8, 10, v8
	s_trap 2
	ds_load_b64 v[16:17], v0
	s_mov_b32 s14, 0
	v_and_b32_e32 v9, 0x3fffffe0, v9
	v_sub_nc_u32_e32 v9, v47, v9
	s_delay_alu instid0(VALU_DEP_1) | instskip(NEXT) | instid1(VALU_DEP_1)
	v_lshlrev_b32_e32 v9, 2, v9
	v_add3_u32 v18, v9, v113, v8
	s_delay_alu instid0(VALU_DEP_1) | instskip(NEXT) | instid1(VALU_DEP_1)
	v_ashrrev_i32_e32 v19, 31, v18
	v_add_nc_u64_e32 v[8:9], v[18:19], v[118:119]
	v_add_nc_u64_e32 v[10:11], v[18:19], v[40:41]
	v_add_nc_u64_e32 v[42:43], v[18:19], v[116:117]
	s_wait_dscnt 0x0
	v_add_nc_u64_e32 v[44:45], v[16:17], v[18:19]
.LBB6_596:                              ;   Parent Loop BB6_47 Depth=1
                                        ;     Parent Loop BB6_499 Depth=2
                                        ; =>    This Inner Loop Header: Depth=3
	s_clause 0x7
	flat_load_b32 v16, v[42:43] th:TH_LOAD_NT
	flat_load_b32 v17, v[42:43] offset:128 th:TH_LOAD_NT
	flat_load_b32 v18, v[42:43] offset:256 th:TH_LOAD_NT
	;; [unrolled: 1-line block ×7, first 2 shown]
	s_clause 0x7
	flat_load_b32 v74, v[44:45] th:TH_LOAD_NT
	flat_load_b32 v75, v[44:45] offset:128 th:TH_LOAD_NT
	flat_load_b32 v76, v[44:45] offset:256 th:TH_LOAD_NT
	;; [unrolled: 1-line block ×7, first 2 shown]
	v_sub_nc_u32_e32 v56, v56, v32
	s_wait_xcnt 0x8
	v_add_nc_u64_e32 v[42:43], v[42:43], v[52:53]
	s_wait_xcnt 0x0
	v_add_nc_u64_e32 v[44:45], v[44:45], v[52:53]
	s_wait_loadcnt_dscnt 0x606
	v_dual_mul_f32 v16, v16, v74 :: v_dual_mul_f32 v17, v17, v75
	s_wait_loadcnt_dscnt 0x404
	v_dual_mul_f32 v18, v18, v76 :: v_dual_mul_f32 v19, v19, v77
	s_wait_loadcnt_dscnt 0x303
	v_mul_f32_e32 v36, v36, v78
	v_cmp_gt_i32_e32 vcc_lo, 1, v56
	s_wait_loadcnt_dscnt 0x101
	v_dual_mul_f32 v37, v37, v79 :: v_dual_mul_f32 v38, v38, v88
	s_wait_loadcnt_dscnt 0x0
	v_mul_f32_e32 v39, v39, v89
	s_clause 0x7
	flat_store_b32 v[8:9], v16 th:TH_STORE_NT
	flat_store_b32 v[8:9], v17 offset:128 th:TH_STORE_NT
	flat_store_b32 v[8:9], v18 offset:256 th:TH_STORE_NT
	;; [unrolled: 1-line block ×7, first 2 shown]
	s_clause 0x7
	flat_store_b32 v[10:11], v16 th:TH_STORE_NT
	flat_store_b32 v[10:11], v17 offset:128 th:TH_STORE_NT
	flat_store_b32 v[10:11], v18 offset:256 th:TH_STORE_NT
	;; [unrolled: 1-line block ×7, first 2 shown]
	s_wait_xcnt 0x8
	v_add_nc_u64_e32 v[8:9], v[8:9], v[52:53]
	s_wait_xcnt 0x0
	v_add_nc_u64_e32 v[10:11], v[10:11], v[52:53]
	s_or_b32 s14, vcc_lo, s14
	s_delay_alu instid0(SALU_CYCLE_1)
	s_and_not1_b32 exec_lo, exec_lo, s14
	s_cbranch_execnz .LBB6_596
; %bb.597:                              ;   in Loop: Header=BB6_499 Depth=2
	s_or_b32 exec_lo, exec_lo, s14
.LBB6_598:                              ;   in Loop: Header=BB6_499 Depth=2
	s_delay_alu instid0(SALU_CYCLE_1) | instskip(SKIP_1) | instid1(VALU_DEP_1)
	s_or_b32 exec_lo, exec_lo, s13
	v_lshlrev_b32_e32 v8, 10, v73
	v_cmp_ne_u32_e32 vcc_lo, v46, v8
	s_and_b32 exec_lo, exec_lo, vcc_lo
	s_cbranch_execz .LBB6_604
; %bb.599:                              ;   in Loop: Header=BB6_499 Depth=2
	v_dual_add_nc_u32 v9, v47, v57 :: v_dual_lshlrev_b32 v10, 5, v56
	s_delay_alu instid0(VALU_DEP_1) | instskip(NEXT) | instid1(VALU_DEP_1)
	v_and_b32_e32 v9, 0xffffffe0, v9
	v_sub_nc_u32_e32 v9, v47, v9
	s_delay_alu instid0(VALU_DEP_1) | instskip(NEXT) | instid1(VALU_DEP_1)
	v_sub_nc_u32_e32 v9, v9, v10
	v_ashrrev_i32_e32 v10, 31, v9
	s_delay_alu instid0(VALU_DEP_1) | instskip(NEXT) | instid1(VALU_DEP_1)
	v_lshrrev_b32_e32 v10, 27, v10
	v_add_nc_u32_e32 v10, v9, v10
	s_delay_alu instid0(VALU_DEP_1) | instskip(NEXT) | instid1(VALU_DEP_1)
	v_and_b32_e32 v11, 0x3fffffe0, v10
	v_dual_lshlrev_b32 v10, 2, v10 :: v_dual_sub_nc_u32 v9, v9, v11
	s_delay_alu instid0(VALU_DEP_1) | instskip(NEXT) | instid1(VALU_DEP_2)
	v_and_b32_e32 v10, 0xffffff80, v10
	v_lshlrev_b32_e32 v9, 2, v9
	s_delay_alu instid0(VALU_DEP_1) | instskip(NEXT) | instid1(VALU_DEP_1)
	v_add3_u32 v8, v10, v9, v8
	v_sub_nc_u32_e32 v44, v46, v8
	s_delay_alu instid0(VALU_DEP_1)
	v_cmp_lt_i32_e32 vcc_lo, 3, v44
	s_and_b32 exec_lo, exec_lo, vcc_lo
	s_cbranch_execz .LBB6_604
; %bb.600:                              ;   in Loop: Header=BB6_499 Depth=2
	s_trap 2
	ds_load_b64 v[16:17], v0
	v_add_nc_u32_e32 v18, v8, v113
	s_mov_b32 s62, 0
	s_delay_alu instid0(VALU_DEP_1) | instskip(NEXT) | instid1(VALU_DEP_1)
	v_ashrrev_i32_e32 v19, 31, v18
	v_add_nc_u64_e32 v[8:9], v[18:19], v[118:119]
	v_add_nc_u64_e32 v[10:11], v[18:19], v[40:41]
	;; [unrolled: 1-line block ×3, first 2 shown]
	s_wait_dscnt 0x0
	v_add_nc_u64_e32 v[42:43], v[16:17], v[18:19]
.LBB6_601:                              ;   Parent Loop BB6_47 Depth=1
                                        ;     Parent Loop BB6_499 Depth=2
                                        ; =>    This Loop Header: Depth=3
                                        ;         Child Loop BB6_602 Depth 4
	flat_load_b32 v16, v[40:41] th:TH_LOAD_NT
	flat_load_b32 v17, v[42:43] th:TH_LOAD_NT
	s_mov_b64 s[40:41], 0
	s_mov_b32 s63, -1
	s_wait_loadcnt_dscnt 0x0
	v_mul_f32_e32 v113, v16, v17
.LBB6_602:                              ;   Parent Loop BB6_47 Depth=1
                                        ;     Parent Loop BB6_499 Depth=2
                                        ;       Parent Loop BB6_601 Depth=3
                                        ; =>      This Inner Loop Header: Depth=4
	s_cmp_eq_u32 s40, 1
	s_cselect_b32 vcc_lo, -1, 0
	s_cmp_eq_u32 s40, 0
	s_wait_xcnt 0x0
	v_dual_cndmask_b32 v17, v9, v11 :: v_dual_cndmask_b32 v16, v8, v10
	s_cselect_b32 s13, -1, 0
	s_and_b32 s14, exec_lo, s63
	s_mov_b64 s[40:41], 1
	s_mov_b32 s63, 0
	v_add_nc_u64_e32 v[18:19], 0x80, v[16:17]
	flat_store_b32 v[16:17], v113 th:TH_STORE_NT
	v_dual_cndmask_b32 v11, v11, v19 :: v_dual_cndmask_b32 v10, v10, v18
	v_dual_cndmask_b32 v9, v9, v19, s13 :: v_dual_cndmask_b32 v8, v8, v18, s13
	s_mov_b32 vcc_lo, s14
	s_cbranch_vccnz .LBB6_602
; %bb.603:                              ;   in Loop: Header=BB6_601 Depth=3
	v_sub_nc_u32_e32 v44, v44, v54
	s_wait_xcnt 0x2
	v_add_nc_u64_e32 v[40:41], v[40:41], v[82:83]
	s_wait_xcnt 0x1
	v_add_nc_u64_e32 v[42:43], v[42:43], v[82:83]
	v_add_nc_u64_e32 v[8:9], v[8:9], v[68:69]
	;; [unrolled: 1-line block ×3, first 2 shown]
	v_cmp_gt_i32_e32 vcc_lo, 4, v44
	s_or_b32 s62, vcc_lo, s62
	s_wait_xcnt 0x0
	s_and_not1_b32 exec_lo, exec_lo, s62
	s_cbranch_execnz .LBB6_601
.LBB6_604:                              ;   in Loop: Header=BB6_499 Depth=2
	s_or_b32 exec_lo, exec_lo, s15
	s_mov_b32 s13, 0
.LBB6_605:                              ;   in Loop: Header=BB6_499 Depth=2
	s_delay_alu instid0(SALU_CYCLE_1)
	s_and_b32 vcc_lo, exec_lo, s13
	s_cbranch_vccz .LBB6_634
; %bb.606:                              ;   in Loop: Header=BB6_499 Depth=2
	s_mov_b32 s13, -1
	s_and_saveexec_b32 s14, s12
	s_cbranch_execz .LBB6_608
; %bb.607:                              ;   in Loop: Header=BB6_499 Depth=2
	ds_load_b32 v8, v0 offset:720
	s_wait_dscnt 0x0
	v_and_b32_e32 v8, 15, v8
	s_delay_alu instid0(VALU_DEP_1)
	v_cmp_eq_u32_e32 vcc_lo, 0, v8
	s_or_not1_b32 s13, vcc_lo, exec_lo
.LBB6_608:                              ;   in Loop: Header=BB6_499 Depth=2
	s_or_b32 exec_lo, exec_lo, s14
	s_and_saveexec_b32 s14, s7
	s_cbranch_execz .LBB6_610
; %bb.609:                              ;   in Loop: Header=BB6_499 Depth=2
	ds_load_b32 v8, v0 offset:784
	s_wait_dscnt 0x0
	v_and_b32_e32 v8, 15, v8
	s_delay_alu instid0(VALU_DEP_1) | instskip(SKIP_3) | instid1(SALU_CYCLE_1)
	v_cmp_eq_u32_e32 vcc_lo, 0, v8
	s_and_b32 s15, s13, vcc_lo
	s_and_not1_b32 s13, s13, exec_lo
	s_and_b32 s15, s15, exec_lo
	s_or_b32 s13, s13, s15
.LBB6_610:                              ;   in Loop: Header=BB6_499 Depth=2
	s_or_b32 exec_lo, exec_lo, s14
	s_xor_b32 s13, s13, -1
	v_mov_b32_e32 v113, 0
	v_cndmask_b32_e64 v8, 0, 1, s13
	s_mov_b32 s15, -1
	s_delay_alu instid0(VALU_DEP_1)
	v_cmp_ne_u32_e32 vcc_lo, 0, v8
	s_cbranch_vccz .LBB6_612
; %bb.611:                              ;   in Loop: Header=BB6_499 Depth=2
	v_dual_mov_b32 v42, v0 :: v_dual_mov_b32 v8, v62
	s_and_saveexec_b32 s13, s15
	s_cbranch_execnz .LBB6_625
	s_branch .LBB6_633
.LBB6_612:                              ;   in Loop: Header=BB6_499 Depth=2
	v_ashrrev_i32_e32 v8, 31, v103
	s_mov_b32 s13, exec_lo
	s_delay_alu instid0(VALU_DEP_1) | instskip(NEXT) | instid1(VALU_DEP_1)
	v_lshrrev_b32_e32 v8, 21, v8
	v_add_nc_u32_e32 v8, v103, v8
	s_delay_alu instid0(VALU_DEP_1) | instskip(NEXT) | instid1(VALU_DEP_1)
	v_ashrrev_i32_e32 v113, 11, v8
	v_sub_nc_u32_e32 v44, v113, v62
	s_delay_alu instid0(VALU_DEP_1)
	v_cmpx_lt_i32_e32 0, v44
	s_cbranch_execz .LBB6_616
; %bb.613:                              ;   in Loop: Header=BB6_499 Depth=2
	s_trap 2
	ds_load_b64 v[10:11], v0
	v_add_nc_u64_e32 v[8:9], v[116:117], v[84:85]
	v_add_nc_u64_e32 v[40:41], v[118:119], v[84:85]
	s_mov_b32 s14, 0
	s_wait_dscnt 0x0
	v_add_nc_u64_e32 v[10:11], v[10:11], v[84:85]
.LBB6_614:                              ;   Parent Loop BB6_47 Depth=1
                                        ;     Parent Loop BB6_499 Depth=2
                                        ; =>    This Inner Loop Header: Depth=3
	global_load_b128 v[74:77], v[10:11], off th:TH_LOAD_NT
	s_clause 0x1
	global_load_b128 v[88:91], v[8:9], off th:TH_LOAD_NT
	global_load_b128 v[92:95], v[8:9], off offset:512 th:TH_LOAD_NT
	s_clause 0x1
	global_load_b128 v[104:107], v[10:11], off offset:512 th:TH_LOAD_NT
	global_load_b128 v[108:111], v[10:11], off offset:1024 th:TH_LOAD_NT
	s_clause 0x1
	global_load_b128 v[120:123], v[8:9], off offset:1024 th:TH_LOAD_NT
	global_load_b128 v[16:19], v[8:9], off offset:1536 th:TH_LOAD_NT
	global_load_b128 v[36:39], v[10:11], off offset:1536 th:TH_LOAD_NT
	v_sub_nc_u32_e32 v44, v44, v32
	s_wait_xcnt 0x1
	v_add_nc_u64_e32 v[8:9], v[8:9], v[64:65]
	s_wait_xcnt 0x0
	v_add_nc_u64_e32 v[10:11], v[10:11], v[64:65]
	s_wait_loadcnt 0x6
	v_dual_mul_f32 v74, v88, v74 :: v_dual_mul_f32 v76, v90, v76
	v_dual_mul_f32 v75, v89, v75 :: v_dual_mul_f32 v77, v91, v77
	s_wait_loadcnt 0x4
	v_dual_mul_f32 v88, v92, v104 :: v_dual_mul_f32 v89, v93, v105
	v_dual_mul_f32 v90, v94, v106 :: v_dual_mul_f32 v91, v95, v107
	s_wait_loadcnt 0x2
	v_dual_mul_f32 v92, v120, v108 :: v_dual_mul_f32 v93, v121, v109
	v_dual_mul_f32 v94, v122, v110 :: v_dual_mul_f32 v95, v123, v111
	s_wait_loadcnt 0x0
	v_dual_mul_f32 v16, v16, v36 :: v_dual_mul_f32 v17, v17, v37
	v_dual_mul_f32 v18, v18, v38 :: v_dual_mul_f32 v19, v19, v39
	v_cmp_gt_i32_e32 vcc_lo, 1, v44
	s_clause 0x3
	global_store_b128 v[40:41], v[74:77], off th:TH_STORE_NT
	global_store_b128 v[40:41], v[88:91], off offset:512 th:TH_STORE_NT
	global_store_b128 v[40:41], v[92:95], off offset:1024 th:TH_STORE_NT
	;; [unrolled: 1-line block ×3, first 2 shown]
	s_wait_xcnt 0x0
	v_add_nc_u64_e32 v[40:41], v[40:41], v[64:65]
	s_or_b32 s14, vcc_lo, s14
	s_delay_alu instid0(SALU_CYCLE_1)
	s_and_not1_b32 exec_lo, exec_lo, s14
	s_cbranch_execnz .LBB6_614
; %bb.615:                              ;   in Loop: Header=BB6_499 Depth=2
	s_or_b32 exec_lo, exec_lo, s14
.LBB6_616:                              ;   in Loop: Header=BB6_499 Depth=2
	s_delay_alu instid0(SALU_CYCLE_1) | instskip(SKIP_3) | instid1(VALU_DEP_1)
	s_or_b32 exec_lo, exec_lo, s13
	v_dual_lshlrev_b32 v43, 11, v113 :: v_dual_mov_b32 v113, 0
	s_mov_b32 s15, 0
	s_mov_b32 s14, exec_lo
                                        ; implicit-def: $vgpr42
                                        ; implicit-def: $vgpr8
	v_cmpx_ne_u32_e64 v103, v43
	s_cbranch_execz .LBB6_624
; %bb.617:                              ;   in Loop: Header=BB6_499 Depth=2
	v_dual_lshlrev_b32 v8, 5, v44 :: v_dual_sub_nc_u32 v10, v103, v43
	s_mov_b32 s15, exec_lo
	s_delay_alu instid0(VALU_DEP_1) | instskip(NEXT) | instid1(VALU_DEP_1)
	v_dual_sub_nc_u32 v8, v63, v8 :: v_dual_ashrrev_i32 v11, 31, v10
	v_dual_ashrrev_i32 v9, 31, v8 :: v_dual_lshrrev_b32 v11, 23, v11
	s_delay_alu instid0(VALU_DEP_1) | instskip(NEXT) | instid1(VALU_DEP_1)
	v_lshrrev_b32_e32 v9, 27, v9
	v_add_nc_u32_e32 v9, v8, v9
	s_delay_alu instid0(VALU_DEP_1) | instskip(NEXT) | instid1(VALU_DEP_1)
	v_and_b32_e32 v16, 0xffffffe0, v9
	v_dual_add_nc_u32 v11, v10, v11 :: v_dual_sub_nc_u32 v45, v8, v16
	s_delay_alu instid0(VALU_DEP_1) | instskip(SKIP_1) | instid1(VALU_DEP_2)
	v_and_b32_e32 v44, 0xfffffe00, v11
	v_dual_ashrrev_i32 v9, 5, v9 :: v_dual_ashrrev_i32 v11, 9, v11
	v_dual_lshlrev_b32 v8, 4, v45 :: v_dual_sub_nc_u32 v46, v10, v44
	s_delay_alu instid0(VALU_DEP_1) | instskip(NEXT) | instid1(VALU_DEP_2)
	v_lshl_add_u32 v8, v9, 9, v8
	v_cmp_lt_i32_e32 vcc_lo, 15, v46
	s_delay_alu instid0(VALU_DEP_4) | instskip(NEXT) | instid1(VALU_DEP_1)
	v_add_co_ci_u32_e64 v11, null, 0, v11, vcc_lo
	v_dual_sub_nc_u32 v113, v10, v8 :: v_dual_sub_nc_u32 v47, v11, v9
	s_delay_alu instid0(VALU_DEP_1)
	v_cmpx_lt_i32_e32 15, v113
	s_cbranch_execz .LBB6_621
; %bb.618:                              ;   in Loop: Header=BB6_499 Depth=2
	s_trap 2
	ds_load_b64 v[10:11], v0
	v_add_nc_u32_e32 v16, v8, v43
	s_mov_b32 s40, 0
	s_delay_alu instid0(VALU_DEP_1) | instskip(NEXT) | instid1(VALU_DEP_1)
	v_ashrrev_i32_e32 v17, 31, v16
	v_add_nc_u64_e32 v[8:9], v[16:17], v[116:117]
	v_add_nc_u64_e32 v[40:41], v[16:17], v[118:119]
	s_wait_dscnt 0x0
	v_add_nc_u64_e32 v[10:11], v[10:11], v[16:17]
.LBB6_619:                              ;   Parent Loop BB6_47 Depth=1
                                        ;     Parent Loop BB6_499 Depth=2
                                        ; =>    This Inner Loop Header: Depth=3
	global_load_b128 v[16:19], v[8:9], off th:TH_LOAD_NT
	global_load_b128 v[36:39], v[10:11], off th:TH_LOAD_NT
	v_sub_nc_u32_e32 v113, v113, v50
	s_wait_xcnt 0x1
	v_add_nc_u64_e32 v[8:9], v[8:9], v[50:51]
	s_wait_xcnt 0x0
	v_add_nc_u64_e32 v[10:11], v[10:11], v[50:51]
	v_sub_nc_u32_e32 v47, v47, v32
	s_wait_loadcnt 0x0
	v_dual_mul_f32 v16, v16, v36 :: v_dual_mul_f32 v17, v17, v37
	v_dual_mul_f32 v18, v18, v38 :: v_dual_mul_f32 v19, v19, v39
	v_cmp_gt_i32_e64 s13, 16, v113
	global_store_b128 v[40:41], v[16:19], off th:TH_STORE_NT
	s_wait_xcnt 0x0
	v_add_nc_u64_e32 v[40:41], v[40:41], v[50:51]
	s_or_b32 s40, s13, s40
	s_delay_alu instid0(SALU_CYCLE_1)
	s_and_not1_b32 exec_lo, exec_lo, s40
	s_cbranch_execnz .LBB6_619
; %bb.620:                              ;   in Loop: Header=BB6_499 Depth=2
	s_or_b32 exec_lo, exec_lo, s40
.LBB6_621:                              ;   in Loop: Header=BB6_499 Depth=2
	s_delay_alu instid0(SALU_CYCLE_1) | instskip(SKIP_3) | instid1(VALU_DEP_1)
	s_or_b32 exec_lo, exec_lo, s15
	v_dual_mov_b32 v113, 0 :: v_dual_bitop2_b32 v9, 12, v103 bitop3:0x40
	s_mov_b32 s15, 0
	s_mov_b32 s40, exec_lo
                                        ; implicit-def: $vgpr42
                                        ; implicit-def: $vgpr8
	v_cndmask_b32_e32 v103, v46, v9, vcc_lo
	s_delay_alu instid0(VALU_DEP_1)
	v_cmpx_ne_u32_e32 0, v103
	s_cbranch_execz .LBB6_623
; %bb.622:                              ;   in Loop: Header=BB6_499 Depth=2
	v_cmp_lt_i32_e64 s13, 0, v47
	s_mov_b32 s15, exec_lo
	v_dual_sub_nc_u32 v9, v46, v9 :: v_dual_cndmask_b32 v8, 0, v32, s13
	s_delay_alu instid0(VALU_DEP_1) | instskip(NEXT) | instid1(VALU_DEP_1)
	v_dual_cndmask_b32 v9, 0, v9 :: v_dual_sub_nc_u32 v8, v8, v47
	v_add3_u32 v113, v44, v43, v9
	s_delay_alu instid0(VALU_DEP_2) | instskip(NEXT) | instid1(VALU_DEP_1)
	v_lshl_add_u32 v42, v8, 5, v45
	v_ashrrev_i32_e32 v8, 31, v42
	s_delay_alu instid0(VALU_DEP_1) | instskip(NEXT) | instid1(VALU_DEP_1)
	v_lshrrev_b32_e32 v8, 27, v8
	v_add_nc_u32_e32 v8, v42, v8
	s_delay_alu instid0(VALU_DEP_1)
	v_ashrrev_i32_e32 v8, 5, v8
.LBB6_623:                              ;   in Loop: Header=BB6_499 Depth=2
	s_or_b32 exec_lo, exec_lo, s40
	s_delay_alu instid0(SALU_CYCLE_1)
	s_and_b32 s15, s15, exec_lo
.LBB6_624:                              ;   in Loop: Header=BB6_499 Depth=2
	s_or_b32 exec_lo, exec_lo, s14
	s_and_saveexec_b32 s13, s15
	s_cbranch_execz .LBB6_633
.LBB6_625:                              ;   in Loop: Header=BB6_499 Depth=2
	v_ashrrev_i32_e32 v9, 31, v103
	s_mov_b32 s14, exec_lo
	s_delay_alu instid0(VALU_DEP_1) | instskip(NEXT) | instid1(VALU_DEP_1)
	v_lshrrev_b32_e32 v9, 22, v9
	v_add_nc_u32_e32 v9, v103, v9
	s_delay_alu instid0(VALU_DEP_1) | instskip(NEXT) | instid1(VALU_DEP_1)
	v_ashrrev_i32_e32 v44, 10, v9
	v_sub_nc_u32_e32 v43, v44, v8
	s_delay_alu instid0(VALU_DEP_1)
	v_cmpx_lt_i32_e32 0, v43
	s_cbranch_execz .LBB6_629
; %bb.626:                              ;   in Loop: Header=BB6_499 Depth=2
	v_dual_ashrrev_i32 v9, 31, v42 :: v_dual_lshlrev_b32 v8, 10, v8
	s_trap 2
	ds_load_b64 v[10:11], v0
	v_add_nc_u64_e32 v[18:19], 0x380, v[118:119]
	v_lshrrev_b32_e32 v9, 27, v9
	s_mov_b32 s15, 0
	s_delay_alu instid0(VALU_DEP_1) | instskip(NEXT) | instid1(VALU_DEP_1)
	v_add_nc_u32_e32 v9, v42, v9
	v_and_b32_e32 v9, 0x3fffffe0, v9
	s_delay_alu instid0(VALU_DEP_1) | instskip(NEXT) | instid1(VALU_DEP_1)
	v_sub_nc_u32_e32 v9, v42, v9
	v_lshlrev_b32_e32 v9, 2, v9
	s_delay_alu instid0(VALU_DEP_1) | instskip(NEXT) | instid1(VALU_DEP_1)
	v_add3_u32 v16, v9, v113, v8
	v_ashrrev_i32_e32 v17, 31, v16
	s_delay_alu instid0(VALU_DEP_1)
	v_add_nc_u64_e32 v[8:9], v[16:17], v[116:117]
	s_wait_dscnt 0x0
	v_add_nc_u64_e32 v[10:11], v[10:11], v[16:17]
	v_add_nc_u64_e32 v[40:41], v[18:19], v[16:17]
.LBB6_627:                              ;   Parent Loop BB6_47 Depth=1
                                        ;     Parent Loop BB6_499 Depth=2
                                        ; =>    This Inner Loop Header: Depth=3
	s_clause 0x7
	flat_load_b32 v16, v[8:9] th:TH_LOAD_NT
	flat_load_b32 v17, v[8:9] offset:128 th:TH_LOAD_NT
	flat_load_b32 v18, v[8:9] offset:256 th:TH_LOAD_NT
	;; [unrolled: 1-line block ×7, first 2 shown]
	s_clause 0x7
	flat_load_b32 v45, v[10:11] th:TH_LOAD_NT
	flat_load_b32 v46, v[10:11] offset:128 th:TH_LOAD_NT
	flat_load_b32 v47, v[10:11] offset:256 th:TH_LOAD_NT
	;; [unrolled: 1-line block ×7, first 2 shown]
	v_sub_nc_u32_e32 v43, v43, v32
	s_wait_xcnt 0x8
	v_add_nc_u64_e32 v[8:9], v[8:9], v[52:53]
	s_wait_xcnt 0x0
	v_add_nc_u64_e32 v[10:11], v[10:11], v[52:53]
	s_wait_loadcnt_dscnt 0x606
	v_dual_mul_f32 v16, v16, v45 :: v_dual_mul_f32 v17, v17, v46
	s_wait_loadcnt_dscnt 0x404
	v_dual_mul_f32 v18, v18, v47 :: v_dual_mul_f32 v19, v19, v56
	s_wait_loadcnt_dscnt 0x303
	v_mul_f32_e32 v36, v36, v57
	v_cmp_gt_i32_e32 vcc_lo, 1, v43
	s_wait_loadcnt_dscnt 0x101
	v_dual_mul_f32 v37, v37, v73 :: v_dual_mul_f32 v38, v38, v74
	s_wait_loadcnt_dscnt 0x0
	v_mul_f32_e32 v39, v39, v75
	s_clause 0x7
	flat_store_b32 v[40:41], v16 offset:-896 th:TH_STORE_NT
	flat_store_b32 v[40:41], v17 offset:-768 th:TH_STORE_NT
	;; [unrolled: 1-line block ×7, first 2 shown]
	flat_store_b32 v[40:41], v39 th:TH_STORE_NT
	s_wait_xcnt 0x0
	v_add_nc_u64_e32 v[40:41], v[40:41], v[52:53]
	s_or_b32 s15, vcc_lo, s15
	s_delay_alu instid0(SALU_CYCLE_1)
	s_and_not1_b32 exec_lo, exec_lo, s15
	s_cbranch_execnz .LBB6_627
; %bb.628:                              ;   in Loop: Header=BB6_499 Depth=2
	s_or_b32 exec_lo, exec_lo, s15
.LBB6_629:                              ;   in Loop: Header=BB6_499 Depth=2
	s_delay_alu instid0(SALU_CYCLE_1) | instskip(SKIP_1) | instid1(VALU_DEP_1)
	s_or_b32 exec_lo, exec_lo, s14
	v_lshlrev_b32_e32 v8, 10, v44
	v_cmp_ne_u32_e32 vcc_lo, v103, v8
	s_and_b32 exec_lo, exec_lo, vcc_lo
	s_cbranch_execz .LBB6_633
; %bb.630:                              ;   in Loop: Header=BB6_499 Depth=2
	v_dual_ashrrev_i32 v9, 31, v42 :: v_dual_lshlrev_b32 v10, 5, v43
	s_delay_alu instid0(VALU_DEP_1) | instskip(NEXT) | instid1(VALU_DEP_1)
	v_lshrrev_b32_e32 v9, 27, v9
	v_add_nc_u32_e32 v9, v42, v9
	s_delay_alu instid0(VALU_DEP_1) | instskip(NEXT) | instid1(VALU_DEP_1)
	v_and_b32_e32 v9, 0xffffffe0, v9
	v_sub_nc_u32_e32 v9, v42, v9
	s_delay_alu instid0(VALU_DEP_1) | instskip(NEXT) | instid1(VALU_DEP_1)
	v_sub_nc_u32_e32 v9, v9, v10
	v_ashrrev_i32_e32 v10, 31, v9
	s_delay_alu instid0(VALU_DEP_1) | instskip(NEXT) | instid1(VALU_DEP_1)
	v_lshrrev_b32_e32 v10, 27, v10
	v_add_nc_u32_e32 v10, v9, v10
	s_delay_alu instid0(VALU_DEP_1) | instskip(NEXT) | instid1(VALU_DEP_1)
	v_and_b32_e32 v11, 0x3fffffe0, v10
	v_sub_nc_u32_e32 v9, v9, v11
	s_delay_alu instid0(VALU_DEP_1) | instskip(NEXT) | instid1(VALU_DEP_1)
	v_dual_lshlrev_b32 v9, 2, v9 :: v_dual_lshlrev_b32 v10, 2, v10
	v_and_b32_e32 v10, 0xffffff80, v10
	s_delay_alu instid0(VALU_DEP_1) | instskip(NEXT) | instid1(VALU_DEP_1)
	v_add3_u32 v8, v10, v9, v8
	v_sub_nc_u32_e32 v103, v103, v8
	s_delay_alu instid0(VALU_DEP_1)
	v_cmp_lt_i32_e32 vcc_lo, 3, v103
	s_and_b32 exec_lo, exec_lo, vcc_lo
	s_cbranch_execz .LBB6_633
; %bb.631:                              ;   in Loop: Header=BB6_499 Depth=2
	s_trap 2
	ds_load_b64 v[10:11], v0
	v_add_nc_u32_e32 v16, v8, v113
	s_mov_b32 s14, 0
	s_delay_alu instid0(VALU_DEP_1) | instskip(NEXT) | instid1(VALU_DEP_1)
	v_ashrrev_i32_e32 v17, 31, v16
	v_add_nc_u64_e32 v[8:9], v[16:17], v[116:117]
	v_add_nc_u64_e32 v[116:117], v[16:17], v[118:119]
	s_wait_dscnt 0x0
	v_add_nc_u64_e32 v[10:11], v[10:11], v[16:17]
.LBB6_632:                              ;   Parent Loop BB6_47 Depth=1
                                        ;     Parent Loop BB6_499 Depth=2
                                        ; =>    This Inner Loop Header: Depth=3
	flat_load_b32 v16, v[8:9] th:TH_LOAD_NT
	flat_load_b32 v17, v[10:11] th:TH_LOAD_NT
	v_sub_nc_u32_e32 v103, v103, v54
	s_wait_xcnt 0x1
	v_add_nc_u64_e32 v[8:9], v[8:9], v[54:55]
	s_wait_xcnt 0x0
	v_add_nc_u64_e32 v[10:11], v[10:11], v[54:55]
	s_wait_loadcnt_dscnt 0x0
	v_mul_f32_e32 v16, v16, v17
	v_cmp_gt_i32_e32 vcc_lo, 4, v103
	flat_store_b32 v[116:117], v16 th:TH_STORE_NT
	s_wait_xcnt 0x0
	v_add_nc_u64_e32 v[116:117], v[116:117], v[54:55]
	s_or_b32 s14, vcc_lo, s14
	s_delay_alu instid0(SALU_CYCLE_1)
	s_and_not1_b32 exec_lo, exec_lo, s14
	s_cbranch_execnz .LBB6_632
.LBB6_633:                              ;   in Loop: Header=BB6_499 Depth=2
	s_or_b32 exec_lo, exec_lo, s13
.LBB6_634:                              ;   in Loop: Header=BB6_499 Depth=2
	v_cmp_lt_i32_e64 s13, 0, v2
	s_and_saveexec_b32 s14, s2
	s_cbranch_execz .LBB6_575
.LBB6_635:                              ;   in Loop: Header=BB6_499 Depth=2
	s_and_saveexec_b32 s15, s3
	s_delay_alu instid0(SALU_CYCLE_1)
	s_xor_b32 s15, exec_lo, s15
	s_cbranch_execz .LBB6_650
; %bb.636:                              ;   in Loop: Header=BB6_499 Depth=2
	s_and_saveexec_b32 s40, s6
	s_cbranch_execz .LBB6_649
; %bb.637:                              ;   in Loop: Header=BB6_499 Depth=2
	s_mov_b32 s62, exec_lo
	s_mov_b32 s41, exec_lo
	v_mbcnt_lo_u32_b32 v2, s62, 0
	global_wb scope:SCOPE_DEV
	s_wait_storecnt 0x0
	s_wait_loadcnt_dscnt 0x0
	global_inv scope:SCOPE_DEV
	v_cmpx_eq_u32_e32 0, v2
	s_cbranch_execz .LBB6_639
; %bb.638:                              ;   in Loop: Header=BB6_499 Depth=2
	s_bcnt1_i32_b32 s62, s62
	s_delay_alu instid0(SALU_CYCLE_1)
	v_mov_b32_e32 v2, s62
	s_wait_loadcnt 0x0
	ds_add_u64 v0, v[2:3]
	s_trap 2
.LBB6_639:                              ;   in Loop: Header=BB6_499 Depth=2
	s_or_b32 exec_lo, exec_lo, s41
	s_trap 2
	ds_load_b64 v[8:9], v0
	s_wait_dscnt 0x0
	v_add_nc_u64_e32 v[12:13], v[12:13], v[32:33]
	s_mov_b32 s41, exec_lo
	s_delay_alu instid0(VALU_DEP_1)
	v_cmpx_lt_u64_e64 v[8:9], v[12:13]
	s_cbranch_execz .LBB6_648
; %bb.640:                              ;   in Loop: Header=BB6_499 Depth=2
	s_mov_b32 s62, 0
	s_mov_b32 s73, 0
                                        ; implicit-def: $sgpr63
                                        ; implicit-def: $sgpr72
	s_branch .LBB6_642
.LBB6_641:                              ;   in Loop: Header=BB6_642 Depth=3
	s_or_b32 exec_lo, exec_lo, s75
	s_delay_alu instid0(SALU_CYCLE_1) | instskip(NEXT) | instid1(SALU_CYCLE_1)
	s_and_b32 s74, exec_lo, s76
	s_or_b32 s62, s74, s62
	s_and_not1_b32 s63, s63, exec_lo
	s_and_b32 s74, s72, exec_lo
	s_delay_alu instid0(SALU_CYCLE_1)
	s_or_b32 s63, s63, s74
	s_and_not1_b32 exec_lo, exec_lo, s62
	s_cbranch_execz .LBB6_646
.LBB6_642:                              ;   Parent Loop BB6_47 Depth=1
                                        ;     Parent Loop BB6_499 Depth=2
                                        ; =>    This Inner Loop Header: Depth=3
	s_add_co_i32 s73, s73, 1
	s_delay_alu instid0(SALU_CYCLE_1) | instskip(SKIP_1) | instid1(SALU_CYCLE_1)
	s_cmp_lg_u32 s73, 0x2710
	s_cselect_b32 s74, -1, 0
	s_and_b32 vcc_lo, exec_lo, s74
	s_cbranch_vccz .LBB6_644
; %bb.643:                              ;   in Loop: Header=BB6_642 Depth=3
	s_mov_b32 s76, -1
	s_or_b32 s72, s72, exec_lo
	s_and_saveexec_b32 s75, s74
	s_cbranch_execz .LBB6_641
	s_branch .LBB6_645
.LBB6_644:                              ;   in Loop: Header=BB6_642 Depth=3
	s_trap 2
	ds_load_b64 v[8:9], v0
	s_and_not1_b32 s74, s74, exec_lo
	s_mov_b32 s73, 0
	s_wait_loadcnt_dscnt 0x0
	flat_load_b32 v2, v[8:9] scope:SCOPE_SYS
	s_wait_loadcnt_dscnt 0x0
	global_inv scope:SCOPE_SYS
	v_cmp_eq_u32_e32 vcc_lo, 0, v2
	s_and_b32 s75, vcc_lo, exec_lo
	s_delay_alu instid0(SALU_CYCLE_1)
	s_or_b32 s74, s74, s75
	s_mov_b32 s76, -1
	s_or_b32 s72, s72, exec_lo
	s_and_saveexec_b32 s75, s74
	s_cbranch_execz .LBB6_641
.LBB6_645:                              ;   in Loop: Header=BB6_642 Depth=3
	s_sleep 1
	s_trap 2
	ds_load_b64 v[8:9], v0
	s_wait_dscnt 0x0
	s_and_not1_b32 s72, s72, exec_lo
	v_cmp_ge_u64_e32 vcc_lo, v[8:9], v[12:13]
	s_or_not1_b32 s76, vcc_lo, exec_lo
	s_branch .LBB6_641
.LBB6_646:                              ;   in Loop: Header=BB6_499 Depth=2
	s_or_b32 exec_lo, exec_lo, s62
	s_and_saveexec_b32 s62, s63
	s_delay_alu instid0(SALU_CYCLE_1)
	s_xor_b32 s62, exec_lo, s62
	s_cbranch_execz .LBB6_648
; %bb.647:                              ;   in Loop: Header=BB6_499 Depth=2
	ds_store_b32 v0, v59
	s_trap 2
.LBB6_648:                              ;   in Loop: Header=BB6_499 Depth=2
	s_or_b32 exec_lo, exec_lo, s41
	;;#ASMSTART
	s_wakeup
	;;#ASMEND
.LBB6_649:                              ;   in Loop: Header=BB6_499 Depth=2
	s_or_b32 exec_lo, exec_lo, s40
.LBB6_650:                              ;   in Loop: Header=BB6_499 Depth=2
	s_and_not1_saveexec_b32 s15, s15
	s_cbranch_execz .LBB6_652
; %bb.651:                              ;   in Loop: Header=BB6_499 Depth=2
	global_wb scope:SCOPE_DEV
	s_wait_storecnt 0x0
	s_wait_loadcnt_dscnt 0x0
	global_inv scope:SCOPE_DEV
	s_barrier_signal -1
	s_barrier_wait -1
.LBB6_652:                              ;   in Loop: Header=BB6_499 Depth=2
	s_or_b32 exec_lo, exec_lo, s15
	s_delay_alu instid0(SALU_CYCLE_1) | instskip(SKIP_1) | instid1(SALU_CYCLE_1)
	s_or_b32 exec_lo, exec_lo, s14
                                        ; implicit-def: $vgpr2
	s_and_saveexec_b32 s14, s10
	s_xor_b32 s14, exec_lo, s14
	s_cbranch_execnz .LBB6_576
.LBB6_653:                              ;   in Loop: Header=BB6_499 Depth=2
	s_and_not1_saveexec_b32 s13, s14
	s_cbranch_execz .LBB6_672
.LBB6_654:                              ;   in Loop: Header=BB6_499 Depth=2
	s_and_saveexec_b32 s14, s3
	s_delay_alu instid0(SALU_CYCLE_1)
	s_xor_b32 s14, exec_lo, s14
	s_cbranch_execz .LBB6_669
; %bb.655:                              ;   in Loop: Header=BB6_499 Depth=2
	s_and_saveexec_b32 s15, s6
	s_cbranch_execz .LBB6_668
; %bb.656:                              ;   in Loop: Header=BB6_499 Depth=2
	s_mov_b32 s41, exec_lo
	s_mov_b32 s40, exec_lo
	v_mbcnt_lo_u32_b32 v2, s41, 0
	;;#ASMSTART
	s_waitcnt lgkmcnt(0) vmcnt(0)
	;;#ASMEND
	s_delay_alu instid0(VALU_DEP_1)
	v_cmpx_eq_u32_e32 0, v2
	s_cbranch_execz .LBB6_658
; %bb.657:                              ;   in Loop: Header=BB6_499 Depth=2
	s_bcnt1_i32_b32 s41, s41
	s_delay_alu instid0(SALU_CYCLE_1)
	v_mov_b32_e32 v2, s41
	s_wait_storecnt 0x0
	s_wait_loadcnt_dscnt 0x0
	ds_add_u64 v0, v[2:3]
	s_trap 2
.LBB6_658:                              ;   in Loop: Header=BB6_499 Depth=2
	s_or_b32 exec_lo, exec_lo, s40
	s_trap 2
	ds_load_b64 v[8:9], v0
	s_wait_dscnt 0x0
	v_add_nc_u64_e32 v[12:13], v[12:13], v[32:33]
	s_mov_b32 s40, exec_lo
	s_delay_alu instid0(VALU_DEP_1)
	v_cmpx_lt_u64_e64 v[8:9], v[12:13]
	s_cbranch_execz .LBB6_667
; %bb.659:                              ;   in Loop: Header=BB6_499 Depth=2
	s_mov_b32 s41, 0
	s_mov_b32 s72, 0
                                        ; implicit-def: $sgpr62
                                        ; implicit-def: $sgpr63
	s_branch .LBB6_661
.LBB6_660:                              ;   in Loop: Header=BB6_661 Depth=3
	s_or_b32 exec_lo, exec_lo, s74
	s_delay_alu instid0(SALU_CYCLE_1) | instskip(NEXT) | instid1(SALU_CYCLE_1)
	s_and_b32 s73, exec_lo, s75
	s_or_b32 s41, s73, s41
	s_and_not1_b32 s62, s62, exec_lo
	s_and_b32 s73, s63, exec_lo
	s_delay_alu instid0(SALU_CYCLE_1)
	s_or_b32 s62, s62, s73
	s_and_not1_b32 exec_lo, exec_lo, s41
	s_cbranch_execz .LBB6_665
.LBB6_661:                              ;   Parent Loop BB6_47 Depth=1
                                        ;     Parent Loop BB6_499 Depth=2
                                        ; =>    This Inner Loop Header: Depth=3
	s_add_co_i32 s72, s72, 1
	s_delay_alu instid0(SALU_CYCLE_1) | instskip(SKIP_1) | instid1(SALU_CYCLE_1)
	s_cmp_lg_u32 s72, 0x2710
	s_cselect_b32 s73, -1, 0
	s_and_b32 vcc_lo, exec_lo, s73
	s_cbranch_vccz .LBB6_663
; %bb.662:                              ;   in Loop: Header=BB6_661 Depth=3
	s_mov_b32 s75, -1
	s_or_b32 s63, s63, exec_lo
	s_and_saveexec_b32 s74, s73
	s_cbranch_execz .LBB6_660
	s_branch .LBB6_664
.LBB6_663:                              ;   in Loop: Header=BB6_661 Depth=3
	s_trap 2
	ds_load_b64 v[8:9], v0
	s_and_not1_b32 s73, s73, exec_lo
	s_mov_b32 s72, 0
	s_wait_storecnt 0x0
	s_wait_loadcnt_dscnt 0x0
	flat_load_b32 v2, v[8:9] scope:SCOPE_SYS
	s_wait_loadcnt_dscnt 0x0
	global_inv scope:SCOPE_SYS
	v_cmp_eq_u32_e32 vcc_lo, 0, v2
	s_and_b32 s74, vcc_lo, exec_lo
	s_delay_alu instid0(SALU_CYCLE_1)
	s_or_b32 s73, s73, s74
	s_mov_b32 s75, -1
	s_or_b32 s63, s63, exec_lo
	s_and_saveexec_b32 s74, s73
	s_cbranch_execz .LBB6_660
.LBB6_664:                              ;   in Loop: Header=BB6_661 Depth=3
	s_sleep 1
	s_trap 2
	ds_load_b64 v[8:9], v0
	s_wait_dscnt 0x0
	s_and_not1_b32 s63, s63, exec_lo
	v_cmp_ge_u64_e32 vcc_lo, v[8:9], v[12:13]
	s_or_not1_b32 s75, vcc_lo, exec_lo
	s_branch .LBB6_660
.LBB6_665:                              ;   in Loop: Header=BB6_499 Depth=2
	s_or_b32 exec_lo, exec_lo, s41
	s_and_saveexec_b32 s41, s62
	s_delay_alu instid0(SALU_CYCLE_1)
	s_xor_b32 s41, exec_lo, s41
	s_cbranch_execz .LBB6_667
; %bb.666:                              ;   in Loop: Header=BB6_499 Depth=2
	ds_store_b32 v0, v59
	s_trap 2
.LBB6_667:                              ;   in Loop: Header=BB6_499 Depth=2
	s_or_b32 exec_lo, exec_lo, s40
	;;#ASMSTART
	s_wakeup
	;;#ASMEND
.LBB6_668:                              ;   in Loop: Header=BB6_499 Depth=2
	s_or_b32 exec_lo, exec_lo, s15
.LBB6_669:                              ;   in Loop: Header=BB6_499 Depth=2
	s_and_not1_saveexec_b32 s14, s14
	s_cbranch_execz .LBB6_671
; %bb.670:                              ;   in Loop: Header=BB6_499 Depth=2
	;;#ASMSTART
	s_waitcnt lgkmcnt(0) vmcnt(0)
	;;#ASMEND
	s_barrier_signal -1
	s_barrier_wait -1
.LBB6_671:                              ;   in Loop: Header=BB6_499 Depth=2
	s_or_b32 exec_lo, exec_lo, s14
	v_and_b32_e32 v2, 16, v30
.LBB6_672:                              ;   in Loop: Header=BB6_499 Depth=2
	s_or_b32 exec_lo, exec_lo, s13
	s_delay_alu instid0(VALU_DEP_1) | instskip(SKIP_1) | instid1(SALU_CYCLE_1)
	v_cmp_ne_u32_e32 vcc_lo, 0, v2
	s_xor_b32 s13, s4, -1
	s_and_b32 s14, vcc_lo, s13
	s_delay_alu instid0(SALU_CYCLE_1)
	s_and_saveexec_b32 s13, s14
	s_cbranch_execz .LBB6_674
; %bb.673:                              ;   in Loop: Header=BB6_499 Depth=2
	global_wb scope:SCOPE_SYS
	s_wait_storecnt 0x0
	s_wait_loadcnt_dscnt 0x0
	flat_store_b32 v[26:27], v59 scope:SCOPE_SYS
.LBB6_674:                              ;   in Loop: Header=BB6_499 Depth=2
	s_wait_xcnt 0x0
	s_or_b32 exec_lo, exec_lo, s13
	v_and_b32_e32 v2, 48, v30
	s_mov_b32 s13, exec_lo
	s_delay_alu instid0(VALU_DEP_1)
	v_cmpx_ne_u32_e32 0, v2
	s_cbranch_execz .LBB6_498
; %bb.675:                              ;   in Loop: Header=BB6_499 Depth=2
	v_add_nc_u64_e32 v[96:97], 2, v[96:97]
	global_wb scope:SCOPE_SYS
	s_wait_storecnt 0x0
	s_wait_loadcnt_dscnt 0x0
	flat_store_b64 v[20:21], v[96:97] scope:SCOPE_SYS
	s_branch .LBB6_498
.LBB6_676:                              ;   in Loop: Header=BB6_47 Depth=1
	s_or_b32 exec_lo, exec_lo, s27
.LBB6_677:                              ;   in Loop: Header=BB6_47 Depth=1
	s_delay_alu instid0(SALU_CYCLE_1) | instskip(NEXT) | instid1(SALU_CYCLE_1)
	s_or_b32 exec_lo, exec_lo, s18
	s_mov_b32 s14, exec_lo
	v_cmpx_gt_i32_e32 2, v2
	s_cbranch_execz .LBB6_753
; %bb.678:                              ;   in Loop: Header=BB6_47 Depth=1
	v_cmp_eq_u32_e64 s18, 0, v2
	s_mov_b32 s15, 0
	s_branch .LBB6_680
.LBB6_679:                              ;   in Loop: Header=BB6_680 Depth=2
	s_wait_xcnt 0x0
	s_or_b32 exec_lo, exec_lo, s13
	v_add_nc_u32_e32 v112, v102, v112
	s_mov_b32 s18, 0
	s_and_not1_b32 exec_lo, exec_lo, s15
	s_cbranch_execz .LBB6_752
.LBB6_680:                              ;   Parent Loop BB6_47 Depth=1
                                        ; =>  This Loop Header: Depth=2
                                        ;       Child Loop BB6_686 Depth 3
                                        ;       Child Loop BB6_714 Depth 3
	;; [unrolled: 1-line block ×3, first 2 shown]
	s_delay_alu instid0(VALU_DEP_1) | instskip(SKIP_1) | instid1(VALU_DEP_1)
	v_dual_sub_nc_u32 v2, v72, v112 :: v_dual_bitop2_b32 v8, 12, v30 bitop3:0x40
	s_mov_b32 s27, exec_lo
	v_min_i32_e32 v102, v102, v2
	s_delay_alu instid0(VALU_DEP_2)
	v_cmpx_ne_u32_e32 0, v8
	s_cbranch_execz .LBB6_706
; %bb.681:                              ;   in Loop: Header=BB6_680 Depth=2
	v_and_b32_e32 v2, 8, v30
	v_add_nc_u64_e32 v[8:9], 2, v[96:97]
	s_mov_b32 s40, exec_lo
	s_wait_loadcnt_dscnt 0x1
	s_delay_alu instid0(VALU_DEP_2) | instskip(NEXT) | instid1(VALU_DEP_1)
	v_add_nc_u64_e32 v[10:11], v[28:29], v[2:3]
	v_cmpx_lt_u64_e64 v[10:11], v[8:9]
	s_cbranch_execz .LBB6_693
; %bb.682:                              ;   in Loop: Header=BB6_680 Depth=2
	v_and_b32_e32 v10, 64, v30
	s_mov_b32 s41, 0
	s_mov_b32 s63, 0
                                        ; implicit-def: $sgpr60
                                        ; implicit-def: $sgpr61
                                        ; implicit-def: $sgpr62
	s_delay_alu instid0(VALU_DEP_1)
	v_cmp_eq_u32_e32 vcc_lo, 0, v10
	s_branch .LBB6_686
.LBB6_683:                              ;   in Loop: Header=BB6_686 Depth=3
	s_wait_loadcnt_dscnt 0x0
	v_add_nc_u64_e32 v[16:17], v[28:29], v[2:3]
	s_or_b32 s74, s74, exec_lo
	s_delay_alu instid0(VALU_DEP_1)
	v_cmp_ge_u64_e64 s13, v[16:17], v[8:9]
	s_or_not1_b32 s73, s13, exec_lo
.LBB6_684:                              ;   in Loop: Header=BB6_686 Depth=3
	s_or_b32 exec_lo, exec_lo, s76
	s_delay_alu instid0(SALU_CYCLE_1)
	s_and_not1_b32 s13, s62, exec_lo
	s_and_b32 s62, s74, exec_lo
	s_and_not1_b32 s61, s61, exec_lo
	s_and_b32 s73, s73, exec_lo
	s_or_b32 s62, s13, s62
	s_or_b32 s61, s61, s73
.LBB6_685:                              ;   in Loop: Header=BB6_686 Depth=3
	s_or_b32 exec_lo, exec_lo, s72
	s_delay_alu instid0(SALU_CYCLE_1) | instskip(NEXT) | instid1(SALU_CYCLE_1)
	s_and_b32 s13, exec_lo, s61
	s_or_b32 s41, s13, s41
	s_and_not1_b32 s13, s60, exec_lo
	s_and_b32 s60, s62, exec_lo
	s_delay_alu instid0(SALU_CYCLE_1)
	s_or_b32 s60, s13, s60
	s_and_not1_b32 exec_lo, exec_lo, s41
	s_cbranch_execz .LBB6_690
.LBB6_686:                              ;   Parent Loop BB6_47 Depth=1
                                        ;     Parent Loop BB6_680 Depth=2
                                        ; =>    This Inner Loop Header: Depth=3
	s_sleep 1
	s_wait_loadcnt_dscnt 0x0
	flat_load_b64 v[28:29], v[20:21] scope:SCOPE_SYS
	s_or_b32 s62, s62, exec_lo
	s_or_b32 s61, s61, exec_lo
                                        ; implicit-def: $vgpr10
	s_wait_xcnt 0x0
	s_and_saveexec_b32 s72, vcc_lo
	s_cbranch_execz .LBB6_685
; %bb.687:                              ;   in Loop: Header=BB6_686 Depth=3
	s_cmp_lt_i32 s63, 0x270f
	s_mov_b32 s73, -1
	s_cselect_b32 s75, -1, 0
	s_cmp_gt_i32 s63, 0x270e
	s_cbranch_scc0 .LBB6_689
; %bb.688:                              ;   in Loop: Header=BB6_686 Depth=3
	s_trap 2
	ds_load_b64 v[10:11], v0
	s_and_not1_b32 s63, s75, exec_lo
	s_mov_b32 s74, 0
	s_wait_storecnt 0x0
	s_wait_loadcnt_dscnt 0x0
	flat_load_b32 v10, v[10:11] scope:SCOPE_SYS
	s_wait_loadcnt_dscnt 0x0
	global_inv scope:SCOPE_SYS
	v_cmp_eq_u32_e64 s13, 0, v10
	s_and_b32 s13, s13, exec_lo
	s_delay_alu instid0(SALU_CYCLE_1)
	s_or_b32 s75, s63, s13
	s_mov_b32 s63, 0
	s_and_saveexec_b32 s76, s75
	s_cbranch_execz .LBB6_684
	s_branch .LBB6_683
.LBB6_689:                              ;   in Loop: Header=BB6_686 Depth=3
	s_add_co_i32 s63, s63, 1
	s_mov_b32 s74, -1
                                        ; implicit-def: $vgpr10
	s_and_saveexec_b32 s76, s75
	s_cbranch_execz .LBB6_684
	s_branch .LBB6_683
.LBB6_690:                              ;   in Loop: Header=BB6_680 Depth=2
	s_or_b32 exec_lo, exec_lo, s41
	s_xor_b32 s13, s60, -1
	s_delay_alu instid0(SALU_CYCLE_1) | instskip(NEXT) | instid1(SALU_CYCLE_1)
	s_and_saveexec_b32 s41, s13
	s_xor_b32 s13, exec_lo, s41
	s_cbranch_execz .LBB6_692
; %bb.691:                              ;   in Loop: Header=BB6_680 Depth=2
	v_or_b32_e32 v30, 64, v30
	s_wait_storecnt 0x0
	s_wait_loadcnt_dscnt 0x0
	ds_store_b32 v0, v10
	s_trap 2
.LBB6_692:                              ;   in Loop: Header=BB6_680 Depth=2
	s_or_b32 exec_lo, exec_lo, s13
.LBB6_693:                              ;   in Loop: Header=BB6_680 Depth=2
	s_delay_alu instid0(SALU_CYCLE_1) | instskip(SKIP_2) | instid1(VALU_DEP_1)
	s_or_b32 exec_lo, exec_lo, s40
	v_and_b32_e32 v10, 0x108, v30
	;;#ASMSTART
	s_wakeup
	;;#ASMEND
	v_cmp_ne_u32_e32 vcc_lo, 0x108, v10
                                        ; implicit-def: $vgpr10_vgpr11
	s_and_saveexec_b32 s13, vcc_lo
	s_delay_alu instid0(SALU_CYCLE_1)
	s_xor_b32 s13, exec_lo, s13
; %bb.694:                              ;   in Loop: Header=BB6_680 Depth=2
	v_dual_mov_b32 v11, v3 :: v_dual_bitop2_b32 v10, 7, v96 bitop3:0x40
                                        ; implicit-def: $vgpr96_vgpr97
; %bb.695:                              ;   in Loop: Header=BB6_680 Depth=2
	s_and_not1_saveexec_b32 s13, s13
	s_cbranch_execz .LBB6_697
; %bb.696:                              ;   in Loop: Header=BB6_680 Depth=2
	v_dual_ashrrev_i32 v103, 31, v102 :: v_dual_bitop2_b32 v10, 7, v96 bitop3:0x40
	v_mov_b32_e32 v11, v3
	s_delay_alu instid0(VALU_DEP_2) | instskip(NEXT) | instid1(VALU_DEP_3)
	v_mad_nc_u64_u32 v[16:17], v10, 24, v[6:7]
	v_lshlrev_b64_e32 v[18:19], 2, v[102:103]
	flat_store_b64 v[16:17], v[18:19] offset:8
.LBB6_697:                              ;   in Loop: Header=BB6_680 Depth=2
	s_wait_xcnt 0x0
	s_or_b32 exec_lo, exec_lo, s13
	v_and_b32_e32 v16, 0x100, v30
	s_mov_b32 s13, -1
	s_mov_b32 s40, exec_lo
                                        ; implicit-def: $vgpr96_vgpr97
	s_delay_alu instid0(VALU_DEP_1)
	v_cmpx_ne_u32_e32 0, v16
	s_cbranch_execz .LBB6_701
; %bb.698:                              ;   in Loop: Header=BB6_680 Depth=2
	v_mad_nc_u64_u32 v[114:115], v10, 24, v[6:7]
	s_mov_b32 s41, exec_lo
                                        ; implicit-def: $vgpr96_vgpr97
	s_delay_alu instid0(VALU_DEP_1)
	v_mad_u32 v115, v11, 24, v115
	flat_load_b32 v16, v[114:115]
	s_wait_loadcnt_dscnt 0x0
	v_cmp_ne_u32_e32 vcc_lo, 1, v16
	s_wait_xcnt 0x0
	v_cmpx_eq_u32_e32 1, v16
	s_cbranch_execz .LBB6_700
; %bb.699:                              ;   in Loop: Header=BB6_680 Depth=2
	flat_load_b32 v16, v[114:115] offset:4 scope:SCOPE_SYS
	s_wait_loadcnt_dscnt 0x0
	v_ashrrev_i32_e32 v17, 31, v16
	s_delay_alu instid0(VALU_DEP_1)
	v_lshrrev_b64 v[96:97], 2, v[16:17]
.LBB6_700:                              ;   in Loop: Header=BB6_680 Depth=2
	s_wait_xcnt 0x0
	s_or_b32 exec_lo, exec_lo, s41
	s_delay_alu instid0(SALU_CYCLE_1)
	s_or_not1_b32 s13, vcc_lo, exec_lo
.LBB6_701:                              ;   in Loop: Header=BB6_680 Depth=2
	s_or_b32 exec_lo, exec_lo, s40
	s_and_saveexec_b32 s40, s13
; %bb.702:                              ;   in Loop: Header=BB6_680 Depth=2
	v_mul_u64_e32 v[96:97], v[10:11], v[22:23]
; %bb.703:                              ;   in Loop: Header=BB6_680 Depth=2
	s_or_b32 exec_lo, exec_lo, s40
	v_cmp_eq_u32_e32 vcc_lo, 0, v2
	v_and_b32_e32 v16, 0x2000, v30
	s_delay_alu instid0(VALU_DEP_3) | instskip(SKIP_2) | instid1(VALU_DEP_1)
	v_lshl_add_u64 v[10:11], v[96:97], 2, v[24:25]
	s_mov_b32 s13, exec_lo
	v_cndmask_b32_e32 v2, 0xd0, v60, vcc_lo
	v_add_nc_u32_e32 v2, v0, v2
	ds_store_b64 v2, v[10:11] offset:584
	v_cmpx_ne_u32_e32 0, v16
	s_cbranch_execz .LBB6_705
; %bb.704:                              ;   in Loop: Header=BB6_680 Depth=2
	ds_load_b64 v[10:11], v0 offset:872
	s_wait_dscnt 0x0
	v_add_nc_u64_e32 v[10:11], 1, v[10:11]
	ds_store_b64 v0, v[10:11] offset:872
.LBB6_705:                              ;   in Loop: Header=BB6_680 Depth=2
	s_or_b32 exec_lo, exec_lo, s13
	v_mov_b64_e32 v[96:97], v[8:9]
.LBB6_706:                              ;   in Loop: Header=BB6_680 Depth=2
	s_or_b32 exec_lo, exec_lo, s27
	s_xor_b32 s13, s18, -1
	s_delay_alu instid0(SALU_CYCLE_1) | instskip(NEXT) | instid1(SALU_CYCLE_1)
	s_and_b32 s13, exec_lo, s13
	s_or_b32 s15, s13, s15
	s_and_saveexec_b32 s13, s2
	s_cbranch_execz .LBB6_725
; %bb.707:                              ;   in Loop: Header=BB6_680 Depth=2
	s_and_saveexec_b32 s18, s3
	s_delay_alu instid0(SALU_CYCLE_1)
	s_xor_b32 s18, exec_lo, s18
	s_cbranch_execz .LBB6_722
; %bb.708:                              ;   in Loop: Header=BB6_680 Depth=2
	s_and_saveexec_b32 s27, s6
	s_cbranch_execz .LBB6_721
; %bb.709:                              ;   in Loop: Header=BB6_680 Depth=2
	s_mov_b32 s41, exec_lo
	s_mov_b32 s40, exec_lo
	v_mbcnt_lo_u32_b32 v2, s41, 0
	global_wb scope:SCOPE_DEV
	s_wait_storecnt 0x0
	s_wait_loadcnt_dscnt 0x0
	global_inv scope:SCOPE_DEV
	v_cmpx_eq_u32_e32 0, v2
	s_cbranch_execz .LBB6_711
; %bb.710:                              ;   in Loop: Header=BB6_680 Depth=2
	s_bcnt1_i32_b32 s41, s41
	s_delay_alu instid0(SALU_CYCLE_1)
	v_mov_b32_e32 v2, s41
	s_wait_loadcnt 0x0
	ds_add_u64 v0, v[2:3]
	s_trap 2
.LBB6_711:                              ;   in Loop: Header=BB6_680 Depth=2
	s_or_b32 exec_lo, exec_lo, s40
	s_trap 2
	ds_load_b64 v[8:9], v0
	s_wait_dscnt 0x0
	v_add_nc_u64_e32 v[12:13], v[12:13], v[32:33]
	s_mov_b32 s40, exec_lo
	s_delay_alu instid0(VALU_DEP_1)
	v_cmpx_lt_u64_e64 v[8:9], v[12:13]
	s_cbranch_execz .LBB6_720
; %bb.712:                              ;   in Loop: Header=BB6_680 Depth=2
	s_mov_b32 s41, 0
	s_mov_b32 s62, 0
                                        ; implicit-def: $sgpr60
                                        ; implicit-def: $sgpr61
	s_branch .LBB6_714
.LBB6_713:                              ;   in Loop: Header=BB6_714 Depth=3
	s_or_b32 exec_lo, exec_lo, s72
	s_delay_alu instid0(SALU_CYCLE_1) | instskip(NEXT) | instid1(SALU_CYCLE_1)
	s_and_b32 s63, exec_lo, s73
	s_or_b32 s41, s63, s41
	s_and_not1_b32 s60, s60, exec_lo
	s_and_b32 s63, s61, exec_lo
	s_delay_alu instid0(SALU_CYCLE_1)
	s_or_b32 s60, s60, s63
	s_and_not1_b32 exec_lo, exec_lo, s41
	s_cbranch_execz .LBB6_718
.LBB6_714:                              ;   Parent Loop BB6_47 Depth=1
                                        ;     Parent Loop BB6_680 Depth=2
                                        ; =>    This Inner Loop Header: Depth=3
	s_add_co_i32 s62, s62, 1
	s_delay_alu instid0(SALU_CYCLE_1) | instskip(SKIP_1) | instid1(SALU_CYCLE_1)
	s_cmp_lg_u32 s62, 0x2710
	s_cselect_b32 s63, -1, 0
	s_and_b32 vcc_lo, exec_lo, s63
	s_cbranch_vccz .LBB6_716
; %bb.715:                              ;   in Loop: Header=BB6_714 Depth=3
	s_mov_b32 s73, -1
	s_or_b32 s61, s61, exec_lo
	s_and_saveexec_b32 s72, s63
	s_cbranch_execz .LBB6_713
	s_branch .LBB6_717
.LBB6_716:                              ;   in Loop: Header=BB6_714 Depth=3
	s_trap 2
	ds_load_b64 v[8:9], v0
	s_and_not1_b32 s63, s63, exec_lo
	s_mov_b32 s62, 0
	s_wait_loadcnt_dscnt 0x0
	flat_load_b32 v2, v[8:9] scope:SCOPE_SYS
	s_wait_loadcnt_dscnt 0x0
	global_inv scope:SCOPE_SYS
	v_cmp_eq_u32_e32 vcc_lo, 0, v2
	s_and_b32 s72, vcc_lo, exec_lo
	s_delay_alu instid0(SALU_CYCLE_1)
	s_or_b32 s63, s63, s72
	s_mov_b32 s73, -1
	s_or_b32 s61, s61, exec_lo
	s_and_saveexec_b32 s72, s63
	s_cbranch_execz .LBB6_713
.LBB6_717:                              ;   in Loop: Header=BB6_714 Depth=3
	s_sleep 1
	s_trap 2
	ds_load_b64 v[8:9], v0
	s_wait_dscnt 0x0
	s_and_not1_b32 s61, s61, exec_lo
	v_cmp_ge_u64_e32 vcc_lo, v[8:9], v[12:13]
	s_or_not1_b32 s73, vcc_lo, exec_lo
	s_branch .LBB6_713
.LBB6_718:                              ;   in Loop: Header=BB6_680 Depth=2
	s_or_b32 exec_lo, exec_lo, s41
	s_and_saveexec_b32 s41, s60
	s_delay_alu instid0(SALU_CYCLE_1)
	s_xor_b32 s41, exec_lo, s41
	s_cbranch_execz .LBB6_720
; %bb.719:                              ;   in Loop: Header=BB6_680 Depth=2
	ds_store_b32 v0, v59
	s_trap 2
.LBB6_720:                              ;   in Loop: Header=BB6_680 Depth=2
	s_or_b32 exec_lo, exec_lo, s40
	;;#ASMSTART
	s_wakeup
	;;#ASMEND
.LBB6_721:                              ;   in Loop: Header=BB6_680 Depth=2
	s_or_b32 exec_lo, exec_lo, s27
.LBB6_722:                              ;   in Loop: Header=BB6_680 Depth=2
	s_and_not1_saveexec_b32 s18, s18
	s_cbranch_execz .LBB6_724
; %bb.723:                              ;   in Loop: Header=BB6_680 Depth=2
	global_wb scope:SCOPE_DEV
	s_wait_storecnt 0x0
	s_wait_loadcnt_dscnt 0x0
	global_inv scope:SCOPE_DEV
	s_barrier_signal -1
	s_barrier_wait -1
.LBB6_724:                              ;   in Loop: Header=BB6_680 Depth=2
	s_or_b32 exec_lo, exec_lo, s18
.LBB6_725:                              ;   in Loop: Header=BB6_680 Depth=2
	s_delay_alu instid0(SALU_CYCLE_1) | instskip(SKIP_1) | instid1(SALU_CYCLE_1)
	s_or_b32 exec_lo, exec_lo, s13
                                        ; implicit-def: $vgpr2
	s_and_saveexec_b32 s13, s10
	s_xor_b32 s18, exec_lo, s13
	s_cbranch_execz .LBB6_729
; %bb.726:                              ;   in Loop: Header=BB6_680 Depth=2
	s_trap 2
	ds_load_b32 v2, v0
	v_cmp_lt_i32_e32 vcc_lo, 0, v102
	s_wait_dscnt 0x0
	v_readfirstlane_b32 s13, v2
	v_and_b32_e32 v2, 16, v30
	s_cmp_eq_u32 s13, 0
	s_delay_alu instid0(VALU_DEP_1) | instskip(SKIP_3) | instid1(SALU_CYCLE_1)
	v_cmp_ne_u32_e64 s13, 0, v2
	s_cselect_b32 s27, -1, 0
	v_and_b32_e32 v2, 16, v30
	s_and_b32 s27, vcc_lo, s27
	s_and_b32 s27, s13, s27
	s_delay_alu instid0(SALU_CYCLE_1)
	s_and_saveexec_b32 s13, s27
	s_cbranch_execz .LBB6_728
; %bb.727:                              ;   in Loop: Header=BB6_680 Depth=2
	v_mov_b32_e32 v2, 1
	global_wb scope:SCOPE_SYS
	s_wait_loadcnt 0x0
	s_wait_storecnt 0x0
	global_inv scope:SCOPE_SYS
.LBB6_728:                              ;   in Loop: Header=BB6_680 Depth=2
	s_or_b32 exec_lo, exec_lo, s13
	s_and_not1_saveexec_b32 s13, s18
	s_cbranch_execz .LBB6_748
	s_branch .LBB6_730
.LBB6_729:                              ;   in Loop: Header=BB6_680 Depth=2
	s_and_not1_saveexec_b32 s13, s18
	s_cbranch_execz .LBB6_748
.LBB6_730:                              ;   in Loop: Header=BB6_680 Depth=2
	s_and_saveexec_b32 s18, s3
	s_delay_alu instid0(SALU_CYCLE_1)
	s_xor_b32 s18, exec_lo, s18
	s_cbranch_execz .LBB6_745
; %bb.731:                              ;   in Loop: Header=BB6_680 Depth=2
	s_and_saveexec_b32 s27, s6
	s_cbranch_execz .LBB6_744
; %bb.732:                              ;   in Loop: Header=BB6_680 Depth=2
	s_mov_b32 s41, exec_lo
	s_mov_b32 s40, exec_lo
	v_mbcnt_lo_u32_b32 v2, s41, 0
	;;#ASMSTART
	s_waitcnt lgkmcnt(0) vmcnt(0)
	;;#ASMEND
	s_delay_alu instid0(VALU_DEP_1)
	v_cmpx_eq_u32_e32 0, v2
	s_cbranch_execz .LBB6_734
; %bb.733:                              ;   in Loop: Header=BB6_680 Depth=2
	s_bcnt1_i32_b32 s41, s41
	s_delay_alu instid0(SALU_CYCLE_1)
	v_mov_b32_e32 v2, s41
	s_wait_storecnt 0x0
	s_wait_loadcnt_dscnt 0x0
	ds_add_u64 v0, v[2:3]
	s_trap 2
.LBB6_734:                              ;   in Loop: Header=BB6_680 Depth=2
	s_or_b32 exec_lo, exec_lo, s40
	s_trap 2
	ds_load_b64 v[8:9], v0
	s_wait_dscnt 0x0
	v_add_nc_u64_e32 v[12:13], v[12:13], v[32:33]
	s_mov_b32 s40, exec_lo
	s_delay_alu instid0(VALU_DEP_1)
	v_cmpx_lt_u64_e64 v[8:9], v[12:13]
	s_cbranch_execz .LBB6_743
; %bb.735:                              ;   in Loop: Header=BB6_680 Depth=2
	s_mov_b32 s41, 0
	s_mov_b32 s62, 0
                                        ; implicit-def: $sgpr60
                                        ; implicit-def: $sgpr61
	s_branch .LBB6_737
.LBB6_736:                              ;   in Loop: Header=BB6_737 Depth=3
	s_or_b32 exec_lo, exec_lo, s72
	s_delay_alu instid0(SALU_CYCLE_1) | instskip(NEXT) | instid1(SALU_CYCLE_1)
	s_and_b32 s63, exec_lo, s73
	s_or_b32 s41, s63, s41
	s_and_not1_b32 s60, s60, exec_lo
	s_and_b32 s63, s61, exec_lo
	s_delay_alu instid0(SALU_CYCLE_1)
	s_or_b32 s60, s60, s63
	s_and_not1_b32 exec_lo, exec_lo, s41
	s_cbranch_execz .LBB6_741
.LBB6_737:                              ;   Parent Loop BB6_47 Depth=1
                                        ;     Parent Loop BB6_680 Depth=2
                                        ; =>    This Inner Loop Header: Depth=3
	s_add_co_i32 s62, s62, 1
	s_delay_alu instid0(SALU_CYCLE_1) | instskip(SKIP_1) | instid1(SALU_CYCLE_1)
	s_cmp_lg_u32 s62, 0x2710
	s_cselect_b32 s63, -1, 0
	s_and_b32 vcc_lo, exec_lo, s63
	s_cbranch_vccz .LBB6_739
; %bb.738:                              ;   in Loop: Header=BB6_737 Depth=3
	s_mov_b32 s73, -1
	s_or_b32 s61, s61, exec_lo
	s_and_saveexec_b32 s72, s63
	s_cbranch_execz .LBB6_736
	s_branch .LBB6_740
.LBB6_739:                              ;   in Loop: Header=BB6_737 Depth=3
	s_trap 2
	ds_load_b64 v[8:9], v0
	s_and_not1_b32 s63, s63, exec_lo
	s_mov_b32 s62, 0
	s_wait_storecnt 0x0
	s_wait_loadcnt_dscnt 0x0
	flat_load_b32 v2, v[8:9] scope:SCOPE_SYS
	s_wait_loadcnt_dscnt 0x0
	global_inv scope:SCOPE_SYS
	v_cmp_eq_u32_e32 vcc_lo, 0, v2
	s_and_b32 s72, vcc_lo, exec_lo
	s_delay_alu instid0(SALU_CYCLE_1)
	s_or_b32 s63, s63, s72
	s_mov_b32 s73, -1
	s_or_b32 s61, s61, exec_lo
	s_and_saveexec_b32 s72, s63
	s_cbranch_execz .LBB6_736
.LBB6_740:                              ;   in Loop: Header=BB6_737 Depth=3
	s_sleep 1
	s_trap 2
	ds_load_b64 v[8:9], v0
	s_wait_dscnt 0x0
	s_and_not1_b32 s61, s61, exec_lo
	v_cmp_ge_u64_e32 vcc_lo, v[8:9], v[12:13]
	s_or_not1_b32 s73, vcc_lo, exec_lo
	s_branch .LBB6_736
.LBB6_741:                              ;   in Loop: Header=BB6_680 Depth=2
	s_or_b32 exec_lo, exec_lo, s41
	s_and_saveexec_b32 s41, s60
	s_delay_alu instid0(SALU_CYCLE_1)
	s_xor_b32 s41, exec_lo, s41
	s_cbranch_execz .LBB6_743
; %bb.742:                              ;   in Loop: Header=BB6_680 Depth=2
	ds_store_b32 v0, v59
	s_trap 2
.LBB6_743:                              ;   in Loop: Header=BB6_680 Depth=2
	s_or_b32 exec_lo, exec_lo, s40
	;;#ASMSTART
	s_wakeup
	;;#ASMEND
.LBB6_744:                              ;   in Loop: Header=BB6_680 Depth=2
	s_or_b32 exec_lo, exec_lo, s27
.LBB6_745:                              ;   in Loop: Header=BB6_680 Depth=2
	s_and_not1_saveexec_b32 s18, s18
	s_cbranch_execz .LBB6_747
; %bb.746:                              ;   in Loop: Header=BB6_680 Depth=2
	;;#ASMSTART
	s_waitcnt lgkmcnt(0) vmcnt(0)
	;;#ASMEND
	s_barrier_signal -1
	s_barrier_wait -1
.LBB6_747:                              ;   in Loop: Header=BB6_680 Depth=2
	s_or_b32 exec_lo, exec_lo, s18
	v_and_b32_e32 v2, 16, v30
.LBB6_748:                              ;   in Loop: Header=BB6_680 Depth=2
	s_or_b32 exec_lo, exec_lo, s13
	s_delay_alu instid0(VALU_DEP_1) | instskip(SKIP_1) | instid1(SALU_CYCLE_1)
	v_cmp_ne_u32_e32 vcc_lo, 0, v2
	s_xor_b32 s13, s4, -1
	s_and_b32 s18, vcc_lo, s13
	s_delay_alu instid0(SALU_CYCLE_1)
	s_and_saveexec_b32 s13, s18
	s_cbranch_execz .LBB6_750
; %bb.749:                              ;   in Loop: Header=BB6_680 Depth=2
	global_wb scope:SCOPE_SYS
	s_wait_storecnt 0x0
	s_wait_loadcnt_dscnt 0x0
	flat_store_b32 v[26:27], v59 scope:SCOPE_SYS
.LBB6_750:                              ;   in Loop: Header=BB6_680 Depth=2
	s_wait_xcnt 0x0
	s_or_b32 exec_lo, exec_lo, s13
	v_and_b32_e32 v2, 48, v30
	s_mov_b32 s13, exec_lo
	s_delay_alu instid0(VALU_DEP_1)
	v_cmpx_ne_u32_e32 0, v2
	s_cbranch_execz .LBB6_679
; %bb.751:                              ;   in Loop: Header=BB6_680 Depth=2
	v_add_nc_u64_e32 v[96:97], 2, v[96:97]
	global_wb scope:SCOPE_SYS
	s_wait_storecnt 0x0
	s_wait_loadcnt_dscnt 0x0
	flat_store_b64 v[20:21], v[96:97] scope:SCOPE_SYS
	s_branch .LBB6_679
.LBB6_752:                              ;   in Loop: Header=BB6_47 Depth=1
	s_or_b32 exec_lo, exec_lo, s15
.LBB6_753:                              ;   in Loop: Header=BB6_47 Depth=1
	s_delay_alu instid0(SALU_CYCLE_1) | instskip(NEXT) | instid1(SALU_CYCLE_1)
	s_or_b32 exec_lo, exec_lo, s14
	s_and_not1_b32 vcc_lo, exec_lo, s46
	s_cbranch_vccnz .LBB6_1014
; %bb.754:                              ;   in Loop: Header=BB6_47 Depth=1
	s_mov_b32 s18, 1
.LBB6_755:                              ;   Parent Loop BB6_47 Depth=1
                                        ; =>  This Loop Header: Depth=2
                                        ;       Child Loop BB6_758 Depth 3
                                        ;         Child Loop BB6_766 Depth 4
                                        ;         Child Loop BB6_794 Depth 4
	;; [unrolled: 1-line block ×5, first 2 shown]
                                        ;           Child Loop BB6_846 Depth 5
                                        ;         Child Loop BB6_855 Depth 4
                                        ;         Child Loop BB6_860 Depth 4
                                        ;           Child Loop BB6_861 Depth 5
                                        ;         Child Loop BB6_873 Depth 4
                                        ;         Child Loop BB6_878 Depth 4
	;; [unrolled: 1-line block ×6, first 2 shown]
                                        ;       Child Loop BB6_939 Depth 3
                                        ;         Child Loop BB6_945 Depth 4
                                        ;         Child Loop BB6_973 Depth 4
	;; [unrolled: 1-line block ×3, first 2 shown]
	s_delay_alu instid0(SALU_CYCLE_1) | instskip(SKIP_4) | instid1(SALU_CYCLE_1)
	s_sub_co_i32 s13, s44, s18
	s_mov_b32 s60, 0
	s_cmp_ge_i32 s13, s16
	v_mov_b32_e32 v112, 0
	s_cselect_b32 s14, s16, 0
	s_sub_co_i32 s14, s13, s14
	s_delay_alu instid0(SALU_CYCLE_1) | instskip(NEXT) | instid1(SALU_CYCLE_1)
	s_ashr_i32 s15, s14, 31
	v_mul_u64_e32 v[8:9], s[14:15], v[86:87]
	s_delay_alu instid0(VALU_DEP_1) | instskip(NEXT) | instid1(VALU_DEP_1)
	v_sub_nc_u64_e32 v[10:11], v[98:99], v[8:9]
	v_min_i64 v[10:11], v[86:87], v[10:11]
	s_delay_alu instid0(VALU_DEP_1) | instskip(SKIP_1) | instid1(VALU_DEP_2)
	v_max_i32_e32 v56, 0, v10
	v_cmp_lt_i32_e32 vcc_lo, 0, v10
	v_add_nc_u32_e32 v2, 31, v56
	s_and_b32 s13, s57, vcc_lo
	s_delay_alu instid0(VALU_DEP_1) | instskip(NEXT) | instid1(VALU_DEP_1)
	v_lshrrev_b32_e32 v2, 1, v2
	v_and_b32_e32 v11, 0x3ffffff0, v2
	s_delay_alu instid0(VALU_DEP_1)
	v_dual_mov_b32 v2, 0 :: v_dual_max_i32 v102, s45, v11
	s_and_saveexec_b32 s27, s13
	s_cbranch_execz .LBB6_936
; %bb.756:                              ;   in Loop: Header=BB6_755 Depth=2
	v_add_nc_u64_e32 v[8:9], v[8:9], v[100:101]
	v_mov_b32_e32 v112, 0
	s_mov_b32 s62, 1
	s_mov_b32 s61, -1
	s_delay_alu instid0(VALU_DEP_2)
	v_lshlrev_b64_e32 v[114:115], 2, v[8:9]
	s_branch .LBB6_758
.LBB6_757:                              ;   in Loop: Header=BB6_758 Depth=3
	s_wait_xcnt 0x0
	s_or_b32 exec_lo, exec_lo, s13
	v_dual_add_nc_u32 v112, v102, v112 :: v_dual_mov_b32 v2, s62
	s_xor_b32 s13, s61, -1
	s_mov_b32 s61, 0
	s_mov_b32 s62, 2
	s_delay_alu instid0(VALU_DEP_1) | instskip(SKIP_1) | instid1(SALU_CYCLE_1)
	v_cmp_ge_i32_e32 vcc_lo, v112, v56
	s_or_b32 s13, s13, vcc_lo
	s_and_b32 s13, exec_lo, s13
	s_delay_alu instid0(SALU_CYCLE_1) | instskip(NEXT) | instid1(SALU_CYCLE_1)
	s_or_b32 s60, s13, s60
	s_and_not1_b32 exec_lo, exec_lo, s60
	s_cbranch_execz .LBB6_935
.LBB6_758:                              ;   Parent Loop BB6_47 Depth=1
                                        ;     Parent Loop BB6_755 Depth=2
                                        ; =>    This Loop Header: Depth=3
                                        ;         Child Loop BB6_766 Depth 4
                                        ;         Child Loop BB6_794 Depth 4
	;; [unrolled: 1-line block ×5, first 2 shown]
                                        ;           Child Loop BB6_846 Depth 5
                                        ;         Child Loop BB6_855 Depth 4
                                        ;         Child Loop BB6_860 Depth 4
                                        ;           Child Loop BB6_861 Depth 5
                                        ;         Child Loop BB6_873 Depth 4
                                        ;         Child Loop BB6_878 Depth 4
	;; [unrolled: 1-line block ×6, first 2 shown]
	s_and_saveexec_b32 s13, s0
	s_cbranch_execz .LBB6_760
; %bb.759:                              ;   in Loop: Header=BB6_758 Depth=3
	s_trap 2
	ds_load_b128 v[8:11], v0
	s_wait_dscnt 0x0
	v_cmp_ne_u64_e32 vcc_lo, 0, v[10:11]
	v_ashrrev_i32_e32 v113, 31, v112
	v_add_nc_u64_e32 v[18:19], v[10:11], v[114:115]
	v_add_nc_u64_e32 v[8:9], v[8:9], v[114:115]
	s_delay_alu instid0(VALU_DEP_3) | instskip(NEXT) | instid1(VALU_DEP_1)
	v_lshlrev_b64_e32 v[16:17], 2, v[112:113]
	v_add_nc_u64_e32 v[18:19], v[18:19], v[16:17]
	s_delay_alu instid0(VALU_DEP_3) | instskip(NEXT) | instid1(VALU_DEP_2)
	v_add_nc_u64_e32 v[8:9], v[8:9], v[16:17]
	v_dual_cndmask_b32 v11, 0, v19 :: v_dual_cndmask_b32 v10, 0, v18
	ds_store_b64 v0, v[8:9]
	ds_store_b64 v0, v[10:11]
.LBB6_760:                              ;   in Loop: Header=BB6_758 Depth=3
	s_or_b32 exec_lo, exec_lo, s13
	v_dual_sub_nc_u32 v2, v56, v112 :: v_dual_bitop2_b32 v8, 12, v30 bitop3:0x40
	s_mov_b32 s14, exec_lo
	s_delay_alu instid0(VALU_DEP_1) | instskip(NEXT) | instid1(VALU_DEP_2)
	v_min_i32_e32 v102, v102, v2
	v_cmpx_ne_u32_e32 0, v8
	s_cbranch_execz .LBB6_786
; %bb.761:                              ;   in Loop: Header=BB6_758 Depth=3
	v_and_b32_e32 v2, 8, v30
	v_add_nc_u64_e32 v[8:9], 2, v[96:97]
	s_mov_b32 s15, exec_lo
	s_wait_loadcnt_dscnt 0x1
	s_delay_alu instid0(VALU_DEP_2) | instskip(NEXT) | instid1(VALU_DEP_1)
	v_add_nc_u64_e32 v[10:11], v[28:29], v[2:3]
	v_cmpx_lt_u64_e64 v[10:11], v[8:9]
	s_cbranch_execz .LBB6_773
; %bb.762:                              ;   in Loop: Header=BB6_758 Depth=3
	v_and_b32_e32 v10, 64, v30
	s_mov_b32 s40, 0
	s_mov_b32 s73, 0
                                        ; implicit-def: $sgpr41
                                        ; implicit-def: $sgpr63
                                        ; implicit-def: $sgpr72
	s_delay_alu instid0(VALU_DEP_1)
	v_cmp_eq_u32_e32 vcc_lo, 0, v10
	s_branch .LBB6_766
.LBB6_763:                              ;   in Loop: Header=BB6_766 Depth=4
	s_wait_loadcnt_dscnt 0x0
	v_add_nc_u64_e32 v[16:17], v[28:29], v[2:3]
	s_or_b32 s76, s76, exec_lo
	s_delay_alu instid0(VALU_DEP_1)
	v_cmp_ge_u64_e64 s13, v[16:17], v[8:9]
	s_or_not1_b32 s75, s13, exec_lo
.LBB6_764:                              ;   in Loop: Header=BB6_766 Depth=4
	s_or_b32 exec_lo, exec_lo, s78
	s_delay_alu instid0(SALU_CYCLE_1)
	s_and_not1_b32 s13, s72, exec_lo
	s_and_b32 s72, s76, exec_lo
	s_and_not1_b32 s63, s63, exec_lo
	s_and_b32 s75, s75, exec_lo
	s_or_b32 s72, s13, s72
	s_or_b32 s63, s63, s75
.LBB6_765:                              ;   in Loop: Header=BB6_766 Depth=4
	s_or_b32 exec_lo, exec_lo, s74
	s_delay_alu instid0(SALU_CYCLE_1) | instskip(NEXT) | instid1(SALU_CYCLE_1)
	s_and_b32 s13, exec_lo, s63
	s_or_b32 s40, s13, s40
	s_and_not1_b32 s13, s41, exec_lo
	s_and_b32 s41, s72, exec_lo
	s_delay_alu instid0(SALU_CYCLE_1)
	s_or_b32 s41, s13, s41
	s_and_not1_b32 exec_lo, exec_lo, s40
	s_cbranch_execz .LBB6_770
.LBB6_766:                              ;   Parent Loop BB6_47 Depth=1
                                        ;     Parent Loop BB6_755 Depth=2
                                        ;       Parent Loop BB6_758 Depth=3
                                        ; =>      This Inner Loop Header: Depth=4
	s_sleep 1
	s_wait_loadcnt_dscnt 0x0
	flat_load_b64 v[28:29], v[20:21] scope:SCOPE_SYS
	s_or_b32 s72, s72, exec_lo
	s_or_b32 s63, s63, exec_lo
                                        ; implicit-def: $vgpr10
	s_wait_xcnt 0x0
	s_and_saveexec_b32 s74, vcc_lo
	s_cbranch_execz .LBB6_765
; %bb.767:                              ;   in Loop: Header=BB6_766 Depth=4
	s_cmp_lt_i32 s73, 0x270f
	s_mov_b32 s75, -1
	s_cselect_b32 s77, -1, 0
	s_cmp_gt_i32 s73, 0x270e
	s_cbranch_scc0 .LBB6_769
; %bb.768:                              ;   in Loop: Header=BB6_766 Depth=4
	s_trap 2
	ds_load_b64 v[10:11], v0
	s_and_not1_b32 s73, s77, exec_lo
	s_mov_b32 s76, 0
	s_wait_storecnt 0x0
	s_wait_loadcnt_dscnt 0x0
	flat_load_b32 v10, v[10:11] scope:SCOPE_SYS
	s_wait_loadcnt_dscnt 0x0
	global_inv scope:SCOPE_SYS
	v_cmp_eq_u32_e64 s13, 0, v10
	s_and_b32 s13, s13, exec_lo
	s_delay_alu instid0(SALU_CYCLE_1)
	s_or_b32 s77, s73, s13
	s_mov_b32 s73, 0
	s_and_saveexec_b32 s78, s77
	s_cbranch_execz .LBB6_764
	s_branch .LBB6_763
.LBB6_769:                              ;   in Loop: Header=BB6_766 Depth=4
	s_add_co_i32 s73, s73, 1
	s_mov_b32 s76, -1
                                        ; implicit-def: $vgpr10
	s_and_saveexec_b32 s78, s77
	s_cbranch_execz .LBB6_764
	s_branch .LBB6_763
.LBB6_770:                              ;   in Loop: Header=BB6_758 Depth=3
	s_or_b32 exec_lo, exec_lo, s40
	s_xor_b32 s13, s41, -1
	s_delay_alu instid0(SALU_CYCLE_1) | instskip(NEXT) | instid1(SALU_CYCLE_1)
	s_and_saveexec_b32 s40, s13
	s_xor_b32 s13, exec_lo, s40
	s_cbranch_execz .LBB6_772
; %bb.771:                              ;   in Loop: Header=BB6_758 Depth=3
	v_or_b32_e32 v30, 64, v30
	s_wait_storecnt 0x0
	s_wait_loadcnt_dscnt 0x0
	ds_store_b32 v0, v10
	s_trap 2
.LBB6_772:                              ;   in Loop: Header=BB6_758 Depth=3
	s_or_b32 exec_lo, exec_lo, s13
.LBB6_773:                              ;   in Loop: Header=BB6_758 Depth=3
	s_delay_alu instid0(SALU_CYCLE_1) | instskip(SKIP_2) | instid1(VALU_DEP_1)
	s_or_b32 exec_lo, exec_lo, s15
	v_and_b32_e32 v10, 0x108, v30
	;;#ASMSTART
	s_wakeup
	;;#ASMEND
	v_cmp_ne_u32_e32 vcc_lo, 0x108, v10
                                        ; implicit-def: $vgpr10_vgpr11
	s_and_saveexec_b32 s13, vcc_lo
	s_delay_alu instid0(SALU_CYCLE_1)
	s_xor_b32 s13, exec_lo, s13
; %bb.774:                              ;   in Loop: Header=BB6_758 Depth=3
	v_dual_mov_b32 v11, v3 :: v_dual_bitop2_b32 v10, 7, v96 bitop3:0x40
                                        ; implicit-def: $vgpr96_vgpr97
; %bb.775:                              ;   in Loop: Header=BB6_758 Depth=3
	s_and_not1_saveexec_b32 s13, s13
	s_cbranch_execz .LBB6_777
; %bb.776:                              ;   in Loop: Header=BB6_758 Depth=3
	v_dual_ashrrev_i32 v103, 31, v102 :: v_dual_bitop2_b32 v10, 7, v96 bitop3:0x40
	v_mov_b32_e32 v11, v3
	s_delay_alu instid0(VALU_DEP_2) | instskip(NEXT) | instid1(VALU_DEP_3)
	v_mad_nc_u64_u32 v[16:17], v10, 24, v[6:7]
	v_lshlrev_b64_e32 v[18:19], 2, v[102:103]
	flat_store_b64 v[16:17], v[18:19] offset:8
.LBB6_777:                              ;   in Loop: Header=BB6_758 Depth=3
	s_wait_xcnt 0x0
	s_or_b32 exec_lo, exec_lo, s13
	v_and_b32_e32 v16, 0x100, v30
	s_mov_b32 s13, -1
	s_mov_b32 s15, exec_lo
                                        ; implicit-def: $vgpr96_vgpr97
	s_delay_alu instid0(VALU_DEP_1)
	v_cmpx_ne_u32_e32 0, v16
	s_cbranch_execz .LBB6_781
; %bb.778:                              ;   in Loop: Header=BB6_758 Depth=3
	v_mad_nc_u64_u32 v[116:117], v10, 24, v[6:7]
	s_mov_b32 s40, exec_lo
                                        ; implicit-def: $vgpr96_vgpr97
	s_delay_alu instid0(VALU_DEP_1)
	v_mad_u32 v117, v11, 24, v117
	flat_load_b32 v16, v[116:117]
	s_wait_loadcnt_dscnt 0x0
	v_cmp_ne_u32_e32 vcc_lo, 1, v16
	s_wait_xcnt 0x0
	v_cmpx_eq_u32_e32 1, v16
	s_cbranch_execz .LBB6_780
; %bb.779:                              ;   in Loop: Header=BB6_758 Depth=3
	flat_load_b32 v16, v[116:117] offset:4 scope:SCOPE_SYS
	s_wait_loadcnt_dscnt 0x0
	v_ashrrev_i32_e32 v17, 31, v16
	s_delay_alu instid0(VALU_DEP_1)
	v_lshrrev_b64 v[96:97], 2, v[16:17]
.LBB6_780:                              ;   in Loop: Header=BB6_758 Depth=3
	s_wait_xcnt 0x0
	s_or_b32 exec_lo, exec_lo, s40
	s_delay_alu instid0(SALU_CYCLE_1)
	s_or_not1_b32 s13, vcc_lo, exec_lo
.LBB6_781:                              ;   in Loop: Header=BB6_758 Depth=3
	s_or_b32 exec_lo, exec_lo, s15
	s_and_saveexec_b32 s15, s13
; %bb.782:                              ;   in Loop: Header=BB6_758 Depth=3
	v_mul_u64_e32 v[96:97], v[10:11], v[22:23]
; %bb.783:                              ;   in Loop: Header=BB6_758 Depth=3
	s_or_b32 exec_lo, exec_lo, s15
	v_cmp_eq_u32_e32 vcc_lo, 0, v2
	v_and_b32_e32 v16, 0x2000, v30
	s_delay_alu instid0(VALU_DEP_3) | instskip(SKIP_2) | instid1(VALU_DEP_1)
	v_lshl_add_u64 v[10:11], v[96:97], 2, v[24:25]
	s_mov_b32 s13, exec_lo
	v_cndmask_b32_e32 v2, 0xd0, v61, vcc_lo
	v_add_nc_u32_e32 v2, v0, v2
	ds_store_b64 v2, v[10:11] offset:584
	v_cmpx_ne_u32_e32 0, v16
	s_cbranch_execz .LBB6_785
; %bb.784:                              ;   in Loop: Header=BB6_758 Depth=3
	ds_load_b64 v[10:11], v0 offset:872
	s_wait_dscnt 0x0
	v_add_nc_u64_e32 v[10:11], 1, v[10:11]
	ds_store_b64 v0, v[10:11] offset:872
.LBB6_785:                              ;   in Loop: Header=BB6_758 Depth=3
	s_or_b32 exec_lo, exec_lo, s13
	v_mov_b64_e32 v[96:97], v[8:9]
.LBB6_786:                              ;   in Loop: Header=BB6_758 Depth=3
	s_or_b32 exec_lo, exec_lo, s14
	s_and_saveexec_b32 s13, s2
	s_cbranch_execz .LBB6_805
; %bb.787:                              ;   in Loop: Header=BB6_758 Depth=3
	s_and_saveexec_b32 s14, s3
	s_delay_alu instid0(SALU_CYCLE_1)
	s_xor_b32 s14, exec_lo, s14
	s_cbranch_execz .LBB6_802
; %bb.788:                              ;   in Loop: Header=BB6_758 Depth=3
	s_and_saveexec_b32 s15, s6
	s_cbranch_execz .LBB6_801
; %bb.789:                              ;   in Loop: Header=BB6_758 Depth=3
	s_mov_b32 s41, exec_lo
	s_mov_b32 s40, exec_lo
	v_mbcnt_lo_u32_b32 v2, s41, 0
	global_wb scope:SCOPE_DEV
	s_wait_storecnt 0x0
	s_wait_loadcnt_dscnt 0x0
	global_inv scope:SCOPE_DEV
	v_cmpx_eq_u32_e32 0, v2
	s_cbranch_execz .LBB6_791
; %bb.790:                              ;   in Loop: Header=BB6_758 Depth=3
	s_bcnt1_i32_b32 s41, s41
	s_delay_alu instid0(SALU_CYCLE_1)
	v_mov_b32_e32 v2, s41
	s_wait_loadcnt 0x0
	ds_add_u64 v0, v[2:3]
	s_trap 2
.LBB6_791:                              ;   in Loop: Header=BB6_758 Depth=3
	s_or_b32 exec_lo, exec_lo, s40
	s_trap 2
	ds_load_b64 v[8:9], v0
	s_wait_dscnt 0x0
	v_add_nc_u64_e32 v[12:13], v[12:13], v[32:33]
	s_mov_b32 s40, exec_lo
	s_delay_alu instid0(VALU_DEP_1)
	v_cmpx_lt_u64_e64 v[8:9], v[12:13]
	s_cbranch_execz .LBB6_800
; %bb.792:                              ;   in Loop: Header=BB6_758 Depth=3
	s_mov_b32 s41, 0
	s_mov_b32 s73, 0
                                        ; implicit-def: $sgpr63
                                        ; implicit-def: $sgpr72
	s_branch .LBB6_794
.LBB6_793:                              ;   in Loop: Header=BB6_794 Depth=4
	s_or_b32 exec_lo, exec_lo, s75
	s_delay_alu instid0(SALU_CYCLE_1) | instskip(NEXT) | instid1(SALU_CYCLE_1)
	s_and_b32 s74, exec_lo, s76
	s_or_b32 s41, s74, s41
	s_and_not1_b32 s63, s63, exec_lo
	s_and_b32 s74, s72, exec_lo
	s_delay_alu instid0(SALU_CYCLE_1)
	s_or_b32 s63, s63, s74
	s_and_not1_b32 exec_lo, exec_lo, s41
	s_cbranch_execz .LBB6_798
.LBB6_794:                              ;   Parent Loop BB6_47 Depth=1
                                        ;     Parent Loop BB6_755 Depth=2
                                        ;       Parent Loop BB6_758 Depth=3
                                        ; =>      This Inner Loop Header: Depth=4
	s_add_co_i32 s73, s73, 1
	s_delay_alu instid0(SALU_CYCLE_1) | instskip(SKIP_1) | instid1(SALU_CYCLE_1)
	s_cmp_lg_u32 s73, 0x2710
	s_cselect_b32 s74, -1, 0
	s_and_b32 vcc_lo, exec_lo, s74
	s_cbranch_vccz .LBB6_796
; %bb.795:                              ;   in Loop: Header=BB6_794 Depth=4
	s_mov_b32 s76, -1
	s_or_b32 s72, s72, exec_lo
	s_and_saveexec_b32 s75, s74
	s_cbranch_execz .LBB6_793
	s_branch .LBB6_797
.LBB6_796:                              ;   in Loop: Header=BB6_794 Depth=4
	s_trap 2
	ds_load_b64 v[8:9], v0
	s_and_not1_b32 s74, s74, exec_lo
	s_mov_b32 s73, 0
	s_wait_loadcnt_dscnt 0x0
	flat_load_b32 v2, v[8:9] scope:SCOPE_SYS
	s_wait_loadcnt_dscnt 0x0
	global_inv scope:SCOPE_SYS
	v_cmp_eq_u32_e32 vcc_lo, 0, v2
	s_and_b32 s75, vcc_lo, exec_lo
	s_delay_alu instid0(SALU_CYCLE_1)
	s_or_b32 s74, s74, s75
	s_mov_b32 s76, -1
	s_or_b32 s72, s72, exec_lo
	s_and_saveexec_b32 s75, s74
	s_cbranch_execz .LBB6_793
.LBB6_797:                              ;   in Loop: Header=BB6_794 Depth=4
	s_sleep 1
	s_trap 2
	ds_load_b64 v[8:9], v0
	s_wait_dscnt 0x0
	s_and_not1_b32 s72, s72, exec_lo
	v_cmp_ge_u64_e32 vcc_lo, v[8:9], v[12:13]
	s_or_not1_b32 s76, vcc_lo, exec_lo
	s_branch .LBB6_793
.LBB6_798:                              ;   in Loop: Header=BB6_758 Depth=3
	s_or_b32 exec_lo, exec_lo, s41
	s_and_saveexec_b32 s41, s63
	s_delay_alu instid0(SALU_CYCLE_1)
	s_xor_b32 s41, exec_lo, s41
	s_cbranch_execz .LBB6_800
; %bb.799:                              ;   in Loop: Header=BB6_758 Depth=3
	ds_store_b32 v0, v59
	s_trap 2
.LBB6_800:                              ;   in Loop: Header=BB6_758 Depth=3
	s_or_b32 exec_lo, exec_lo, s40
	;;#ASMSTART
	s_wakeup
	;;#ASMEND
.LBB6_801:                              ;   in Loop: Header=BB6_758 Depth=3
	s_or_b32 exec_lo, exec_lo, s15
.LBB6_802:                              ;   in Loop: Header=BB6_758 Depth=3
	s_and_not1_saveexec_b32 s14, s14
	s_cbranch_execz .LBB6_804
; %bb.803:                              ;   in Loop: Header=BB6_758 Depth=3
	global_wb scope:SCOPE_DEV
	s_wait_storecnt 0x0
	s_wait_loadcnt_dscnt 0x0
	global_inv scope:SCOPE_DEV
	s_barrier_signal -1
	s_barrier_wait -1
.LBB6_804:                              ;   in Loop: Header=BB6_758 Depth=3
	s_or_b32 exec_lo, exec_lo, s14
.LBB6_805:                              ;   in Loop: Header=BB6_758 Depth=3
	s_delay_alu instid0(SALU_CYCLE_1) | instskip(SKIP_4) | instid1(VALU_DEP_1)
	s_or_b32 exec_lo, exec_lo, s13
	s_trap 2
	ds_load_b32 v8, v0
	v_and_b32_e32 v2, 0x4000, v30
	s_xor_b32 s13, s1, -1
	v_cmp_ne_u32_e32 vcc_lo, 0, v2
	s_and_b32 s14, s13, vcc_lo
	s_delay_alu instid0(SALU_CYCLE_1)
	s_and_saveexec_b32 s13, s14
	s_cbranch_execz .LBB6_824
; %bb.806:                              ;   in Loop: Header=BB6_758 Depth=3
	s_and_saveexec_b32 s14, s3
	s_delay_alu instid0(SALU_CYCLE_1)
	s_xor_b32 s14, exec_lo, s14
	s_cbranch_execz .LBB6_821
; %bb.807:                              ;   in Loop: Header=BB6_758 Depth=3
	s_and_saveexec_b32 s15, s6
	s_cbranch_execz .LBB6_820
; %bb.808:                              ;   in Loop: Header=BB6_758 Depth=3
	s_mov_b32 s41, exec_lo
	s_mov_b32 s40, exec_lo
	v_mbcnt_lo_u32_b32 v2, s41, 0
	global_wb scope:SCOPE_DEV
	s_wait_storecnt 0x0
	s_wait_loadcnt_dscnt 0x0
	global_inv scope:SCOPE_DEV
	v_cmpx_eq_u32_e32 0, v2
	s_cbranch_execz .LBB6_810
; %bb.809:                              ;   in Loop: Header=BB6_758 Depth=3
	s_bcnt1_i32_b32 s41, s41
	s_delay_alu instid0(SALU_CYCLE_1)
	v_mov_b32_e32 v2, s41
	s_wait_loadcnt 0x0
	ds_add_u64 v0, v[2:3]
	s_trap 2
.LBB6_810:                              ;   in Loop: Header=BB6_758 Depth=3
	s_or_b32 exec_lo, exec_lo, s40
	s_trap 2
	ds_load_b64 v[10:11], v0
	s_wait_dscnt 0x0
	v_add_nc_u64_e32 v[12:13], v[12:13], v[32:33]
	s_mov_b32 s40, exec_lo
	s_delay_alu instid0(VALU_DEP_1)
	v_cmpx_lt_u64_e64 v[10:11], v[12:13]
	s_cbranch_execz .LBB6_819
; %bb.811:                              ;   in Loop: Header=BB6_758 Depth=3
	s_mov_b32 s41, 0
	s_mov_b32 s73, 0
                                        ; implicit-def: $sgpr63
                                        ; implicit-def: $sgpr72
	s_branch .LBB6_813
.LBB6_812:                              ;   in Loop: Header=BB6_813 Depth=4
	s_or_b32 exec_lo, exec_lo, s75
	s_delay_alu instid0(SALU_CYCLE_1) | instskip(NEXT) | instid1(SALU_CYCLE_1)
	s_and_b32 s74, exec_lo, s76
	s_or_b32 s41, s74, s41
	s_and_not1_b32 s63, s63, exec_lo
	s_and_b32 s74, s72, exec_lo
	s_delay_alu instid0(SALU_CYCLE_1)
	s_or_b32 s63, s63, s74
	s_and_not1_b32 exec_lo, exec_lo, s41
	s_cbranch_execz .LBB6_817
.LBB6_813:                              ;   Parent Loop BB6_47 Depth=1
                                        ;     Parent Loop BB6_755 Depth=2
                                        ;       Parent Loop BB6_758 Depth=3
                                        ; =>      This Inner Loop Header: Depth=4
	s_add_co_i32 s73, s73, 1
	s_delay_alu instid0(SALU_CYCLE_1) | instskip(SKIP_1) | instid1(SALU_CYCLE_1)
	s_cmp_lg_u32 s73, 0x2710
	s_cselect_b32 s74, -1, 0
	s_and_b32 vcc_lo, exec_lo, s74
	s_cbranch_vccz .LBB6_815
; %bb.814:                              ;   in Loop: Header=BB6_813 Depth=4
	s_mov_b32 s76, -1
	s_or_b32 s72, s72, exec_lo
	s_and_saveexec_b32 s75, s74
	s_cbranch_execz .LBB6_812
	s_branch .LBB6_816
.LBB6_815:                              ;   in Loop: Header=BB6_813 Depth=4
	s_trap 2
	ds_load_b64 v[10:11], v0
	s_and_not1_b32 s74, s74, exec_lo
	s_mov_b32 s73, 0
	s_wait_loadcnt_dscnt 0x0
	flat_load_b32 v2, v[10:11] scope:SCOPE_SYS
	s_wait_loadcnt_dscnt 0x0
	global_inv scope:SCOPE_SYS
	v_cmp_eq_u32_e32 vcc_lo, 0, v2
	s_and_b32 s75, vcc_lo, exec_lo
	s_delay_alu instid0(SALU_CYCLE_1)
	s_or_b32 s74, s74, s75
	s_mov_b32 s76, -1
	s_or_b32 s72, s72, exec_lo
	s_and_saveexec_b32 s75, s74
	s_cbranch_execz .LBB6_812
.LBB6_816:                              ;   in Loop: Header=BB6_813 Depth=4
	s_sleep 1
	s_trap 2
	ds_load_b64 v[10:11], v0
	s_wait_dscnt 0x0
	s_and_not1_b32 s72, s72, exec_lo
	v_cmp_ge_u64_e32 vcc_lo, v[10:11], v[12:13]
	s_or_not1_b32 s76, vcc_lo, exec_lo
	s_branch .LBB6_812
.LBB6_817:                              ;   in Loop: Header=BB6_758 Depth=3
	s_or_b32 exec_lo, exec_lo, s41
	s_and_saveexec_b32 s41, s63
	s_delay_alu instid0(SALU_CYCLE_1)
	s_xor_b32 s41, exec_lo, s41
	s_cbranch_execz .LBB6_819
; %bb.818:                              ;   in Loop: Header=BB6_758 Depth=3
	ds_store_b32 v0, v59
	s_trap 2
.LBB6_819:                              ;   in Loop: Header=BB6_758 Depth=3
	s_or_b32 exec_lo, exec_lo, s40
	;;#ASMSTART
	s_wakeup
	;;#ASMEND
.LBB6_820:                              ;   in Loop: Header=BB6_758 Depth=3
	s_or_b32 exec_lo, exec_lo, s15
.LBB6_821:                              ;   in Loop: Header=BB6_758 Depth=3
	s_and_not1_saveexec_b32 s14, s14
	s_cbranch_execz .LBB6_823
; %bb.822:                              ;   in Loop: Header=BB6_758 Depth=3
	global_wb scope:SCOPE_DEV
	s_wait_storecnt 0x0
	s_wait_loadcnt_dscnt 0x0
	global_inv scope:SCOPE_DEV
	s_barrier_signal -1
	s_barrier_wait -1
.LBB6_823:                              ;   in Loop: Header=BB6_758 Depth=3
	s_or_b32 exec_lo, exec_lo, s14
.LBB6_824:                              ;   in Loop: Header=BB6_758 Depth=3
	s_delay_alu instid0(SALU_CYCLE_1)
	s_or_b32 exec_lo, exec_lo, s13
	s_trap 2
	ds_load_b64 v[116:117], v0
	s_wait_dscnt 0x0
	v_cmp_eq_u64_e32 vcc_lo, 0, v[116:117]
	s_cbranch_vccnz .LBB6_833
; %bb.825:                              ;   in Loop: Header=BB6_758 Depth=3
	s_trap 2
	ds_load_b64 v[118:119], v0
	s_wait_dscnt 0x0
	v_cmp_eq_u64_e32 vcc_lo, 0, v[118:119]
	s_cbranch_vccnz .LBB6_833
; %bb.826:                              ;   in Loop: Header=BB6_758 Depth=3
	s_trap 2
	ds_load_b64 v[40:41], v0
	v_cmp_eq_u32_e32 vcc_lo, 0, v8
	s_mov_b32 s13, -1
	v_cndmask_b32_e32 v2, 0, v102, vcc_lo
	s_delay_alu instid0(VALU_DEP_1)
	v_lshlrev_b32_e32 v103, 2, v2
	s_wait_dscnt 0x0
	v_cmp_ne_u64_e32 vcc_lo, 0, v[40:41]
	s_cbranch_vccz .LBB6_864
; %bb.827:                              ;   in Loop: Header=BB6_758 Depth=3
	s_and_saveexec_b32 s14, s11
	s_cbranch_execz .LBB6_829
; %bb.828:                              ;   in Loop: Header=BB6_758 Depth=3
	ds_load_b32 v8, v0 offset:720
	s_wait_dscnt 0x0
	v_and_b32_e32 v8, 15, v8
	s_delay_alu instid0(VALU_DEP_1)
	v_cmp_eq_u32_e32 vcc_lo, 0, v8
	s_or_not1_b32 s13, vcc_lo, exec_lo
.LBB6_829:                              ;   in Loop: Header=BB6_758 Depth=3
	s_or_b32 exec_lo, exec_lo, s14
	s_and_saveexec_b32 s14, s12
	s_cbranch_execz .LBB6_831
; %bb.830:                              ;   in Loop: Header=BB6_758 Depth=3
	ds_load_b32 v8, v0 offset:784
	s_wait_dscnt 0x0
	v_and_b32_e32 v8, 15, v8
	s_delay_alu instid0(VALU_DEP_1) | instskip(SKIP_3) | instid1(SALU_CYCLE_1)
	v_cmp_eq_u32_e32 vcc_lo, 0, v8
	s_and_b32 s15, s13, vcc_lo
	s_and_not1_b32 s13, s13, exec_lo
	s_and_b32 s15, s15, exec_lo
	s_or_b32 s13, s13, s15
.LBB6_831:                              ;   in Loop: Header=BB6_758 Depth=3
	s_or_b32 exec_lo, exec_lo, s14
	s_xor_b32 s13, s13, -1
	v_dual_mov_b32 v44, 0 :: v_dual_mov_b32 v113, v103
	v_cndmask_b32_e64 v8, 0, 1, s13
	v_mov_b32_e32 v45, v0
	s_mov_b32 s13, -1
	s_delay_alu instid0(VALU_DEP_2)
	v_cmp_ne_u32_e32 vcc_lo, 0, v8
	v_mov_b32_e32 v8, v62
	s_cbranch_vccz .LBB6_838
; %bb.832:                              ;   in Loop: Header=BB6_758 Depth=3
	s_and_saveexec_b32 s15, s13
	s_cbranch_execnz .LBB6_853
	s_branch .LBB6_863
.LBB6_833:                              ;   in Loop: Header=BB6_758 Depth=3
	s_mov_b32 s13, 0
	s_and_saveexec_b32 s14, s2
	s_cbranch_execnz .LBB6_894
.LBB6_834:                              ;   in Loop: Header=BB6_758 Depth=3
	s_or_b32 exec_lo, exec_lo, s14
                                        ; implicit-def: $vgpr2
	s_and_saveexec_b32 s14, s10
	s_delay_alu instid0(SALU_CYCLE_1)
	s_xor_b32 s14, exec_lo, s14
	s_cbranch_execz .LBB6_912
.LBB6_835:                              ;   in Loop: Header=BB6_758 Depth=3
	v_and_b32_e32 v2, 16, v30
	s_delay_alu instid0(VALU_DEP_1) | instskip(SKIP_2) | instid1(SALU_CYCLE_1)
	v_cmp_ne_u32_e32 vcc_lo, 0, v2
	v_and_b32_e32 v2, 16, v30
	s_and_b32 s15, vcc_lo, s13
	s_and_saveexec_b32 s13, s15
	s_cbranch_execz .LBB6_837
; %bb.836:                              ;   in Loop: Header=BB6_758 Depth=3
	v_mov_b32_e32 v2, 1
	global_wb scope:SCOPE_SYS
	s_wait_storecnt 0x0
	s_wait_loadcnt_dscnt 0x0
	global_inv scope:SCOPE_SYS
.LBB6_837:                              ;   in Loop: Header=BB6_758 Depth=3
	s_or_b32 exec_lo, exec_lo, s13
	s_and_not1_saveexec_b32 s13, s14
	s_cbranch_execz .LBB6_931
	s_branch .LBB6_913
.LBB6_838:                              ;   in Loop: Header=BB6_758 Depth=3
	v_ashrrev_i32_e32 v8, 31, v103
	s_mov_b32 s13, exec_lo
	s_delay_alu instid0(VALU_DEP_1) | instskip(NEXT) | instid1(VALU_DEP_1)
	v_lshrrev_b32_e32 v8, 21, v8
	v_add_nc_u32_e32 v8, v103, v8
	s_delay_alu instid0(VALU_DEP_1) | instskip(NEXT) | instid1(VALU_DEP_1)
	v_ashrrev_i32_e32 v113, 11, v8
	v_sub_nc_u32_e32 v46, v113, v62
	s_delay_alu instid0(VALU_DEP_1)
	v_cmpx_lt_i32_e32 0, v46
	s_cbranch_execz .LBB6_842
; %bb.839:                              ;   in Loop: Header=BB6_758 Depth=3
	v_add_nc_u64_e32 v[8:9], v[116:117], v[84:85]
	v_add_nc_u64_e32 v[10:11], v[118:119], v[84:85]
	;; [unrolled: 1-line block ×3, first 2 shown]
	s_mov_b32 s14, 0
.LBB6_840:                              ;   Parent Loop BB6_47 Depth=1
                                        ;     Parent Loop BB6_755 Depth=2
                                        ;       Parent Loop BB6_758 Depth=3
                                        ; =>      This Inner Loop Header: Depth=4
	s_clause 0x3
	global_load_b128 v[16:19], v[8:9], off th:TH_LOAD_NT
	global_load_b128 v[36:39], v[8:9], off offset:512 th:TH_LOAD_NT
	global_load_b128 v[72:75], v[8:9], off offset:1024 th:TH_LOAD_NT
	;; [unrolled: 1-line block ×3, first 2 shown]
	v_sub_nc_u32_e32 v46, v46, v32
	s_wait_xcnt 0x0
	v_add_nc_u64_e32 v[8:9], v[8:9], v[64:65]
	s_wait_loadcnt 0x3
	global_store_b128 v[10:11], v[16:19], off th:TH_STORE_NT
	s_wait_loadcnt 0x2
	global_store_b128 v[10:11], v[36:39], off offset:512 th:TH_STORE_NT
	s_wait_loadcnt 0x1
	global_store_b128 v[10:11], v[72:75], off offset:1024 th:TH_STORE_NT
	;; [unrolled: 2-line block ×3, first 2 shown]
	s_clause 0x3
	global_store_b128 v[42:43], v[16:19], off th:TH_STORE_NT
	global_store_b128 v[42:43], v[36:39], off offset:512 th:TH_STORE_NT
	global_store_b128 v[42:43], v[72:75], off offset:1024 th:TH_STORE_NT
	;; [unrolled: 1-line block ×3, first 2 shown]
	v_cmp_gt_i32_e32 vcc_lo, 1, v46
	s_wait_xcnt 0x4
	v_add_nc_u64_e32 v[10:11], v[10:11], v[64:65]
	s_wait_xcnt 0x0
	v_add_nc_u64_e32 v[42:43], v[42:43], v[64:65]
	s_or_b32 s14, vcc_lo, s14
	s_delay_alu instid0(SALU_CYCLE_1)
	s_and_not1_b32 exec_lo, exec_lo, s14
	s_cbranch_execnz .LBB6_840
; %bb.841:                              ;   in Loop: Header=BB6_758 Depth=3
	s_or_b32 exec_lo, exec_lo, s14
.LBB6_842:                              ;   in Loop: Header=BB6_758 Depth=3
	s_delay_alu instid0(SALU_CYCLE_1) | instskip(SKIP_3) | instid1(VALU_DEP_1)
	s_or_b32 exec_lo, exec_lo, s13
	v_dual_mov_b32 v44, 0 :: v_dual_lshlrev_b32 v57, 11, v113
	s_mov_b32 s13, 0
	s_mov_b32 s63, exec_lo
                                        ; implicit-def: $vgpr113
                                        ; implicit-def: $vgpr45
                                        ; implicit-def: $vgpr8
	v_cmpx_ne_u32_e64 v103, v57
	s_cbranch_execz .LBB6_852
; %bb.843:                              ;   in Loop: Header=BB6_758 Depth=3
	v_dual_lshlrev_b32 v8, 5, v46 :: v_dual_sub_nc_u32 v10, v103, v57
	s_mov_b32 s72, exec_lo
	s_delay_alu instid0(VALU_DEP_1) | instskip(NEXT) | instid1(VALU_DEP_1)
	v_dual_sub_nc_u32 v8, v63, v8 :: v_dual_ashrrev_i32 v11, 31, v10
	v_dual_ashrrev_i32 v9, 31, v8 :: v_dual_lshrrev_b32 v11, 23, v11
	s_delay_alu instid0(VALU_DEP_1) | instskip(NEXT) | instid1(VALU_DEP_1)
	v_lshrrev_b32_e32 v9, 27, v9
	v_add_nc_u32_e32 v9, v8, v9
	s_delay_alu instid0(VALU_DEP_1) | instskip(NEXT) | instid1(VALU_DEP_1)
	v_and_b32_e32 v16, 0xffffffe0, v9
	v_dual_add_nc_u32 v11, v10, v11 :: v_dual_sub_nc_u32 v73, v8, v16
	s_delay_alu instid0(VALU_DEP_1) | instskip(SKIP_1) | instid1(VALU_DEP_2)
	v_and_b32_e32 v72, 0xfffffe00, v11
	v_dual_ashrrev_i32 v9, 5, v9 :: v_dual_ashrrev_i32 v11, 9, v11
	v_dual_lshlrev_b32 v8, 4, v73 :: v_dual_sub_nc_u32 v74, v10, v72
	s_delay_alu instid0(VALU_DEP_1) | instskip(NEXT) | instid1(VALU_DEP_2)
	v_lshl_add_u32 v8, v9, 9, v8
	v_cmp_lt_i32_e64 s13, 15, v74
	s_delay_alu instid0(VALU_DEP_1) | instskip(NEXT) | instid1(VALU_DEP_1)
	v_add_co_ci_u32_e64 v11, null, 0, v11, s13
	v_dual_sub_nc_u32 v113, v10, v8 :: v_dual_sub_nc_u32 v75, v11, v9
	s_delay_alu instid0(VALU_DEP_1)
	v_cmpx_lt_i32_e32 15, v113
	s_cbranch_execz .LBB6_849
; %bb.844:                              ;   in Loop: Header=BB6_758 Depth=3
	v_add_nc_u32_e32 v8, v8, v57
	s_mov_b32 s73, 0
	s_delay_alu instid0(VALU_DEP_1) | instskip(NEXT) | instid1(VALU_DEP_1)
	v_ashrrev_i32_e32 v9, 31, v8
	v_add_nc_u64_e32 v[42:43], v[8:9], v[116:117]
	v_add_nc_u64_e32 v[44:45], v[8:9], v[118:119]
	;; [unrolled: 1-line block ×3, first 2 shown]
.LBB6_845:                              ;   Parent Loop BB6_47 Depth=1
                                        ;     Parent Loop BB6_755 Depth=2
                                        ;       Parent Loop BB6_758 Depth=3
                                        ; =>      This Loop Header: Depth=4
                                        ;           Child Loop BB6_846 Depth 5
	global_load_b128 v[8:11], v[42:43], off th:TH_LOAD_NT
	s_mov_b64 s[40:41], 0
	s_mov_b32 s74, -1
.LBB6_846:                              ;   Parent Loop BB6_47 Depth=1
                                        ;     Parent Loop BB6_755 Depth=2
                                        ;       Parent Loop BB6_758 Depth=3
                                        ;         Parent Loop BB6_845 Depth=4
                                        ; =>        This Inner Loop Header: Depth=5
	s_cmp_eq_u32 s40, 1
	s_cselect_b32 vcc_lo, -1, 0
	s_cmp_eq_u32 s40, 0
	s_wait_xcnt 0x0
	v_dual_cndmask_b32 v17, v45, v47 :: v_dual_cndmask_b32 v16, v44, v46
	s_cselect_b32 s14, -1, 0
	s_and_b32 s15, exec_lo, s74
	s_mov_b64 s[40:41], 1
	s_mov_b32 s74, 0
	v_add_nc_u64_e32 v[18:19], 0x200, v[16:17]
	s_wait_loadcnt 0x0
	global_store_b128 v[16:17], v[8:11], off th:TH_STORE_NT
	v_dual_cndmask_b32 v47, v47, v19 :: v_dual_cndmask_b32 v46, v46, v18
	v_dual_cndmask_b32 v45, v45, v19, s14 :: v_dual_cndmask_b32 v44, v44, v18, s14
	s_mov_b32 vcc_lo, s15
	s_cbranch_vccnz .LBB6_846
; %bb.847:                              ;   in Loop: Header=BB6_845 Depth=4
	v_dual_sub_nc_u32 v113, v113, v50 :: v_dual_sub_nc_u32 v75, v75, v32
	s_delay_alu instid0(VALU_DEP_2)
	v_add_nc_u64_e32 v[44:45], v[44:45], v[66:67]
	v_add_nc_u64_e32 v[46:47], v[46:47], v[66:67]
	s_wait_xcnt 0x1
	v_add_nc_u64_e32 v[42:43], v[70:71], v[42:43]
	v_cmp_gt_i32_e32 vcc_lo, 16, v113
	s_or_b32 s73, vcc_lo, s73
	s_wait_xcnt 0x0
	s_and_not1_b32 exec_lo, exec_lo, s73
	s_cbranch_execnz .LBB6_845
; %bb.848:                              ;   in Loop: Header=BB6_758 Depth=3
	s_or_b32 exec_lo, exec_lo, s73
.LBB6_849:                              ;   in Loop: Header=BB6_758 Depth=3
	s_delay_alu instid0(SALU_CYCLE_1) | instskip(SKIP_3) | instid1(VALU_DEP_1)
	s_or_b32 exec_lo, exec_lo, s72
	v_dual_mov_b32 v44, 0 :: v_dual_bitop2_b32 v9, 12, v103 bitop3:0x40
	s_mov_b32 s14, 0
	s_mov_b32 s15, exec_lo
                                        ; implicit-def: $vgpr45
                                        ; implicit-def: $vgpr8
	v_cndmask_b32_e64 v113, v74, v9, s13
	s_delay_alu instid0(VALU_DEP_1)
	v_cmpx_ne_u32_e32 0, v113
	s_cbranch_execz .LBB6_851
; %bb.850:                              ;   in Loop: Header=BB6_758 Depth=3
	v_cmp_lt_i32_e32 vcc_lo, 0, v75
	s_mov_b32 s14, exec_lo
	v_dual_cndmask_b32 v8, 0, v32 :: v_dual_sub_nc_u32 v9, v74, v9
	s_delay_alu instid0(VALU_DEP_1) | instskip(NEXT) | instid1(VALU_DEP_1)
	v_dual_cndmask_b32 v9, 0, v9, s13 :: v_dual_sub_nc_u32 v8, v8, v75
	v_add3_u32 v44, v72, v57, v9
	s_delay_alu instid0(VALU_DEP_2) | instskip(NEXT) | instid1(VALU_DEP_1)
	v_lshl_add_u32 v45, v8, 5, v73
	v_ashrrev_i32_e32 v8, 31, v45
	s_delay_alu instid0(VALU_DEP_1) | instskip(NEXT) | instid1(VALU_DEP_1)
	v_lshrrev_b32_e32 v8, 27, v8
	v_add_nc_u32_e32 v8, v45, v8
	s_delay_alu instid0(VALU_DEP_1)
	v_ashrrev_i32_e32 v8, 5, v8
.LBB6_851:                              ;   in Loop: Header=BB6_758 Depth=3
	s_or_b32 exec_lo, exec_lo, s15
	s_delay_alu instid0(SALU_CYCLE_1)
	s_and_b32 s13, s14, exec_lo
.LBB6_852:                              ;   in Loop: Header=BB6_758 Depth=3
	s_or_b32 exec_lo, exec_lo, s63
	s_and_saveexec_b32 s15, s13
	s_cbranch_execz .LBB6_863
.LBB6_853:                              ;   in Loop: Header=BB6_758 Depth=3
	v_ashrrev_i32_e32 v9, 31, v113
	s_mov_b32 s13, exec_lo
	s_delay_alu instid0(VALU_DEP_1) | instskip(NEXT) | instid1(VALU_DEP_1)
	v_lshrrev_b32_e32 v9, 22, v9
	v_add_nc_u32_e32 v9, v113, v9
	s_delay_alu instid0(VALU_DEP_1) | instskip(SKIP_1) | instid1(VALU_DEP_1)
	v_ashrrev_i32_e32 v57, 10, v9
	v_ashrrev_i32_e32 v9, 31, v45
	v_dual_lshrrev_b32 v47, 27, v9 :: v_dual_sub_nc_u32 v46, v57, v8
	s_delay_alu instid0(VALU_DEP_1)
	v_cmpx_lt_i32_e32 0, v46
	s_cbranch_execz .LBB6_857
; %bb.854:                              ;   in Loop: Header=BB6_758 Depth=3
	s_delay_alu instid0(VALU_DEP_2) | instskip(SKIP_2) | instid1(VALU_DEP_2)
	v_dual_add_nc_u32 v9, v45, v47 :: v_dual_lshlrev_b32 v8, 10, v8
	v_add_nc_u64_e32 v[18:19], 0x380, v[116:117]
	s_mov_b32 s14, 0
	v_and_b32_e32 v9, 0x3fffffe0, v9
	s_delay_alu instid0(VALU_DEP_1) | instskip(NEXT) | instid1(VALU_DEP_1)
	v_sub_nc_u32_e32 v9, v45, v9
	v_lshlrev_b32_e32 v9, 2, v9
	s_delay_alu instid0(VALU_DEP_1) | instskip(NEXT) | instid1(VALU_DEP_1)
	v_add3_u32 v16, v9, v44, v8
	v_ashrrev_i32_e32 v17, 31, v16
	s_delay_alu instid0(VALU_DEP_1)
	v_add_nc_u64_e32 v[8:9], v[16:17], v[118:119]
	v_add_nc_u64_e32 v[10:11], v[16:17], v[40:41]
	;; [unrolled: 1-line block ×3, first 2 shown]
.LBB6_855:                              ;   Parent Loop BB6_47 Depth=1
                                        ;     Parent Loop BB6_755 Depth=2
                                        ;       Parent Loop BB6_758 Depth=3
                                        ; =>      This Inner Loop Header: Depth=4
	s_clause 0x7
	flat_load_b32 v16, v[42:43] offset:-896 th:TH_LOAD_NT
	flat_load_b32 v17, v[42:43] offset:-768 th:TH_LOAD_NT
	;; [unrolled: 1-line block ×7, first 2 shown]
	flat_load_b32 v39, v[42:43] th:TH_LOAD_NT
	v_sub_nc_u32_e32 v46, v46, v32
	s_wait_xcnt 0x0
	v_add_nc_u64_e32 v[42:43], v[42:43], v[52:53]
	s_wait_loadcnt_dscnt 0x707
	flat_store_b32 v[8:9], v16 th:TH_STORE_NT
	s_wait_loadcnt_dscnt 0x607
	flat_store_b32 v[8:9], v17 offset:128 th:TH_STORE_NT
	s_wait_loadcnt_dscnt 0x507
	flat_store_b32 v[8:9], v18 offset:256 th:TH_STORE_NT
	;; [unrolled: 2-line block ×7, first 2 shown]
	s_clause 0x7
	flat_store_b32 v[10:11], v16 th:TH_STORE_NT
	flat_store_b32 v[10:11], v17 offset:128 th:TH_STORE_NT
	flat_store_b32 v[10:11], v18 offset:256 th:TH_STORE_NT
	;; [unrolled: 1-line block ×7, first 2 shown]
	v_cmp_gt_i32_e32 vcc_lo, 1, v46
	s_wait_xcnt 0x8
	v_add_nc_u64_e32 v[8:9], v[8:9], v[52:53]
	s_wait_xcnt 0x0
	v_add_nc_u64_e32 v[10:11], v[10:11], v[52:53]
	s_or_b32 s14, vcc_lo, s14
	s_delay_alu instid0(SALU_CYCLE_1)
	s_and_not1_b32 exec_lo, exec_lo, s14
	s_cbranch_execnz .LBB6_855
; %bb.856:                              ;   in Loop: Header=BB6_758 Depth=3
	s_or_b32 exec_lo, exec_lo, s14
.LBB6_857:                              ;   in Loop: Header=BB6_758 Depth=3
	s_delay_alu instid0(SALU_CYCLE_1) | instskip(SKIP_1) | instid1(VALU_DEP_1)
	s_or_b32 exec_lo, exec_lo, s13
	v_lshlrev_b32_e32 v8, 10, v57
	v_cmp_ne_u32_e32 vcc_lo, v113, v8
	s_and_b32 exec_lo, exec_lo, vcc_lo
	s_cbranch_execz .LBB6_863
; %bb.858:                              ;   in Loop: Header=BB6_758 Depth=3
	v_dual_add_nc_u32 v9, v45, v47 :: v_dual_lshlrev_b32 v10, 5, v46
	s_delay_alu instid0(VALU_DEP_1) | instskip(NEXT) | instid1(VALU_DEP_1)
	v_and_b32_e32 v9, 0xffffffe0, v9
	v_sub_nc_u32_e32 v9, v45, v9
	s_delay_alu instid0(VALU_DEP_1) | instskip(NEXT) | instid1(VALU_DEP_1)
	v_sub_nc_u32_e32 v9, v9, v10
	v_ashrrev_i32_e32 v10, 31, v9
	s_delay_alu instid0(VALU_DEP_1) | instskip(NEXT) | instid1(VALU_DEP_1)
	v_lshrrev_b32_e32 v10, 27, v10
	v_add_nc_u32_e32 v10, v9, v10
	s_delay_alu instid0(VALU_DEP_1) | instskip(NEXT) | instid1(VALU_DEP_1)
	v_and_b32_e32 v11, 0x3fffffe0, v10
	v_dual_lshlrev_b32 v10, 2, v10 :: v_dual_sub_nc_u32 v9, v9, v11
	s_delay_alu instid0(VALU_DEP_1) | instskip(NEXT) | instid1(VALU_DEP_2)
	v_and_b32_e32 v10, 0xffffff80, v10
	v_lshlrev_b32_e32 v9, 2, v9
	s_delay_alu instid0(VALU_DEP_1) | instskip(NEXT) | instid1(VALU_DEP_1)
	v_add3_u32 v8, v10, v9, v8
	v_sub_nc_u32_e32 v113, v113, v8
	s_delay_alu instid0(VALU_DEP_1)
	v_cmp_lt_i32_e32 vcc_lo, 3, v113
	s_and_b32 exec_lo, exec_lo, vcc_lo
	s_cbranch_execz .LBB6_863
; %bb.859:                              ;   in Loop: Header=BB6_758 Depth=3
	v_add_nc_u32_e32 v16, v8, v44
	s_mov_b32 s63, 0
	s_delay_alu instid0(VALU_DEP_1) | instskip(NEXT) | instid1(VALU_DEP_1)
	v_ashrrev_i32_e32 v17, 31, v16
	v_add_nc_u64_e32 v[8:9], v[16:17], v[116:117]
	v_add_nc_u64_e32 v[10:11], v[16:17], v[118:119]
	;; [unrolled: 1-line block ×3, first 2 shown]
.LBB6_860:                              ;   Parent Loop BB6_47 Depth=1
                                        ;     Parent Loop BB6_755 Depth=2
                                        ;       Parent Loop BB6_758 Depth=3
                                        ; =>      This Loop Header: Depth=4
                                        ;           Child Loop BB6_861 Depth 5
	flat_load_b32 v42, v[8:9] th:TH_LOAD_NT
	s_mov_b64 s[40:41], 0
	s_mov_b32 s72, -1
.LBB6_861:                              ;   Parent Loop BB6_47 Depth=1
                                        ;     Parent Loop BB6_755 Depth=2
                                        ;       Parent Loop BB6_758 Depth=3
                                        ;         Parent Loop BB6_860 Depth=4
                                        ; =>        This Inner Loop Header: Depth=5
	s_cmp_eq_u32 s40, 1
	s_cselect_b32 vcc_lo, -1, 0
	s_cmp_eq_u32 s40, 0
	s_wait_xcnt 0x0
	v_dual_cndmask_b32 v17, v11, v41 :: v_dual_cndmask_b32 v16, v10, v40
	s_cselect_b32 s13, -1, 0
	s_and_b32 s14, exec_lo, s72
	s_mov_b64 s[40:41], 1
	s_mov_b32 s72, 0
	v_add_nc_u64_e32 v[18:19], 0x80, v[16:17]
	s_wait_loadcnt_dscnt 0x0
	flat_store_b32 v[16:17], v42 th:TH_STORE_NT
	v_dual_cndmask_b32 v41, v41, v19 :: v_dual_cndmask_b32 v40, v40, v18
	v_dual_cndmask_b32 v11, v11, v19, s13 :: v_dual_cndmask_b32 v10, v10, v18, s13
	s_mov_b32 vcc_lo, s14
	s_cbranch_vccnz .LBB6_861
; %bb.862:                              ;   in Loop: Header=BB6_860 Depth=4
	v_sub_nc_u32_e32 v113, v113, v54
	s_delay_alu instid0(VALU_DEP_2)
	v_add_nc_u64_e32 v[10:11], v[10:11], v[68:69]
	v_add_nc_u64_e32 v[40:41], v[40:41], v[68:69]
	s_wait_xcnt 0x1
	v_add_nc_u64_e32 v[8:9], v[82:83], v[8:9]
	v_cmp_gt_i32_e32 vcc_lo, 4, v113
	s_or_b32 s63, vcc_lo, s63
	s_wait_xcnt 0x0
	s_and_not1_b32 exec_lo, exec_lo, s63
	s_cbranch_execnz .LBB6_860
.LBB6_863:                              ;   in Loop: Header=BB6_758 Depth=3
	s_or_b32 exec_lo, exec_lo, s15
	s_mov_b32 s13, 0
.LBB6_864:                              ;   in Loop: Header=BB6_758 Depth=3
	s_delay_alu instid0(SALU_CYCLE_1)
	s_and_b32 vcc_lo, exec_lo, s13
	s_cbranch_vccz .LBB6_893
; %bb.865:                              ;   in Loop: Header=BB6_758 Depth=3
	s_mov_b32 s13, -1
	s_and_saveexec_b32 s14, s11
	s_cbranch_execz .LBB6_867
; %bb.866:                              ;   in Loop: Header=BB6_758 Depth=3
	ds_load_b32 v8, v0 offset:720
	s_wait_dscnt 0x0
	v_and_b32_e32 v8, 15, v8
	s_delay_alu instid0(VALU_DEP_1)
	v_cmp_eq_u32_e32 vcc_lo, 0, v8
	s_or_not1_b32 s13, vcc_lo, exec_lo
.LBB6_867:                              ;   in Loop: Header=BB6_758 Depth=3
	s_or_b32 exec_lo, exec_lo, s14
	s_and_saveexec_b32 s14, s7
	s_cbranch_execz .LBB6_869
; %bb.868:                              ;   in Loop: Header=BB6_758 Depth=3
	ds_load_b32 v8, v0 offset:784
	s_wait_dscnt 0x0
	v_and_b32_e32 v8, 15, v8
	s_delay_alu instid0(VALU_DEP_1) | instskip(SKIP_3) | instid1(SALU_CYCLE_1)
	v_cmp_eq_u32_e32 vcc_lo, 0, v8
	s_and_b32 s15, s13, vcc_lo
	s_and_not1_b32 s13, s13, exec_lo
	s_and_b32 s15, s15, exec_lo
	s_or_b32 s13, s13, s15
.LBB6_869:                              ;   in Loop: Header=BB6_758 Depth=3
	s_or_b32 exec_lo, exec_lo, s14
	s_xor_b32 s13, s13, -1
	v_mov_b32_e32 v113, 0
	v_cndmask_b32_e64 v8, 0, 1, s13
	s_mov_b32 s15, -1
	s_delay_alu instid0(VALU_DEP_1)
	v_cmp_ne_u32_e32 vcc_lo, 0, v8
	s_cbranch_vccz .LBB6_871
; %bb.870:                              ;   in Loop: Header=BB6_758 Depth=3
	v_dual_mov_b32 v42, v0 :: v_dual_mov_b32 v8, v62
	s_and_saveexec_b32 s13, s15
	s_cbranch_execnz .LBB6_884
	s_branch .LBB6_892
.LBB6_871:                              ;   in Loop: Header=BB6_758 Depth=3
	v_ashrrev_i32_e32 v8, 31, v103
	s_mov_b32 s13, exec_lo
	s_delay_alu instid0(VALU_DEP_1) | instskip(NEXT) | instid1(VALU_DEP_1)
	v_lshrrev_b32_e32 v8, 20, v8
	v_add_nc_u32_e32 v8, v103, v8
	s_delay_alu instid0(VALU_DEP_1) | instskip(NEXT) | instid1(VALU_DEP_1)
	v_ashrrev_i32_e32 v113, 12, v8
	v_sub_nc_u32_e32 v40, v113, v62
	s_delay_alu instid0(VALU_DEP_1)
	v_cmpx_lt_i32_e32 0, v40
	s_cbranch_execz .LBB6_875
; %bb.872:                              ;   in Loop: Header=BB6_758 Depth=3
	v_mov_b64_e32 v[8:9], v[118:119]
	v_mov_b64_e32 v[10:11], v[116:117]
	s_mov_b32 s14, 0
.LBB6_873:                              ;   Parent Loop BB6_47 Depth=1
                                        ;     Parent Loop BB6_755 Depth=2
                                        ;       Parent Loop BB6_758 Depth=3
                                        ; =>      This Inner Loop Header: Depth=4
	s_delay_alu instid0(VALU_DEP_1)
	v_add_nc_u64_e32 v[46:47], v[80:81], v[10:11]
	v_sub_nc_u32_e32 v40, v40, v32
	v_add_nc_u64_e32 v[10:11], v[10:11], v[48:49]
	s_clause 0x7
	global_load_b128 v[16:19], v[46:47], off th:TH_LOAD_NT
	global_load_b128 v[36:39], v[46:47], off offset:512 th:TH_LOAD_NT
	global_load_b128 v[42:45], v[46:47], off offset:1024 th:TH_LOAD_NT
	;; [unrolled: 1-line block ×7, first 2 shown]
	s_wait_xcnt 0x0
	v_add_nc_u64_e32 v[46:47], v[80:81], v[8:9]
	v_add_nc_u64_e32 v[8:9], v[8:9], v[48:49]
	v_cmp_gt_i32_e32 vcc_lo, 1, v40
	s_wait_loadcnt 0x7
	global_store_b128 v[46:47], v[16:19], off th:TH_STORE_NT
	s_wait_loadcnt 0x6
	global_store_b128 v[46:47], v[36:39], off offset:512 th:TH_STORE_NT
	s_wait_loadcnt 0x5
	global_store_b128 v[46:47], v[42:45], off offset:1024 th:TH_STORE_NT
	;; [unrolled: 2-line block ×7, first 2 shown]
	s_or_b32 s14, vcc_lo, s14
	s_wait_xcnt 0x0
	s_and_not1_b32 exec_lo, exec_lo, s14
	s_cbranch_execnz .LBB6_873
; %bb.874:                              ;   in Loop: Header=BB6_758 Depth=3
	s_or_b32 exec_lo, exec_lo, s14
.LBB6_875:                              ;   in Loop: Header=BB6_758 Depth=3
	s_delay_alu instid0(SALU_CYCLE_1) | instskip(SKIP_3) | instid1(VALU_DEP_1)
	s_or_b32 exec_lo, exec_lo, s13
	v_dual_mov_b32 v113, 0 :: v_dual_lshlrev_b32 v10, 12, v113
	s_mov_b32 s15, 0
	s_mov_b32 s14, exec_lo
                                        ; implicit-def: $vgpr42
                                        ; implicit-def: $vgpr8
	v_cmpx_ne_u32_e64 v103, v10
	s_cbranch_execz .LBB6_883
; %bb.876:                              ;   in Loop: Header=BB6_758 Depth=3
	v_dual_lshlrev_b32 v8, 5, v40 :: v_dual_sub_nc_u32 v16, v103, v10
	s_mov_b32 s15, exec_lo
	s_delay_alu instid0(VALU_DEP_1) | instskip(NEXT) | instid1(VALU_DEP_2)
	v_sub_nc_u32_e32 v8, v63, v8
	v_ashrrev_i32_e32 v11, 31, v16
	s_delay_alu instid0(VALU_DEP_1) | instskip(NEXT) | instid1(VALU_DEP_1)
	v_dual_ashrrev_i32 v9, 31, v8 :: v_dual_lshrrev_b32 v11, 23, v11
	v_lshrrev_b32_e32 v9, 27, v9
	s_delay_alu instid0(VALU_DEP_1) | instskip(NEXT) | instid1(VALU_DEP_3)
	v_add_nc_u32_e32 v9, v8, v9
	v_add_nc_u32_e32 v18, v16, v11
	s_delay_alu instid0(VALU_DEP_2) | instskip(SKIP_1) | instid1(VALU_DEP_3)
	v_and_b32_e32 v17, 0xffffffe0, v9
	v_ashrrev_i32_e32 v9, 5, v9
	v_and_b32_e32 v11, 0xfffffe00, v18
	s_delay_alu instid0(VALU_DEP_3) | instskip(NEXT) | instid1(VALU_DEP_1)
	v_dual_sub_nc_u32 v40, v8, v17 :: v_dual_ashrrev_i32 v17, 9, v18
	v_dual_sub_nc_u32 v41, v16, v11 :: v_dual_lshlrev_b32 v8, 4, v40
	s_delay_alu instid0(VALU_DEP_1) | instskip(NEXT) | instid1(VALU_DEP_2)
	v_cmp_lt_i32_e32 vcc_lo, 15, v41
	v_lshl_add_u32 v8, v9, 9, v8
	s_delay_alu instid0(VALU_DEP_4) | instskip(NEXT) | instid1(VALU_DEP_1)
	v_add_co_ci_u32_e64 v17, null, 0, v17, vcc_lo
	v_dual_sub_nc_u32 v113, v16, v8 :: v_dual_sub_nc_u32 v43, v17, v9
	s_delay_alu instid0(VALU_DEP_1)
	v_cmpx_lt_i32_e32 15, v113
	s_cbranch_execz .LBB6_880
; %bb.877:                              ;   in Loop: Header=BB6_758 Depth=3
	v_add_nc_u32_e32 v8, v8, v10
	s_mov_b32 s40, 0
	s_delay_alu instid0(VALU_DEP_1)
	v_ashrrev_i32_e32 v9, 31, v8
.LBB6_878:                              ;   Parent Loop BB6_47 Depth=1
                                        ;     Parent Loop BB6_755 Depth=2
                                        ;       Parent Loop BB6_758 Depth=3
                                        ; =>      This Inner Loop Header: Depth=4
	s_delay_alu instid0(VALU_DEP_1) | instskip(SKIP_3) | instid1(VALU_DEP_3)
	v_add_nc_u64_e32 v[16:17], v[116:117], v[8:9]
	v_dual_sub_nc_u32 v113, v113, v50 :: v_dual_sub_nc_u32 v43, v43, v32
	v_add_nc_u64_e32 v[36:37], v[118:119], v[8:9]
	v_add_nc_u64_e32 v[8:9], v[8:9], v[50:51]
	v_cmp_gt_i32_e64 s13, 16, v113
	global_load_b128 v[16:19], v[16:17], off th:TH_LOAD_NT
	s_or_b32 s40, s13, s40
	s_wait_loadcnt 0x0
	global_store_b128 v[36:37], v[16:19], off th:TH_STORE_NT
	s_wait_xcnt 0x0
	s_and_not1_b32 exec_lo, exec_lo, s40
	s_cbranch_execnz .LBB6_878
; %bb.879:                              ;   in Loop: Header=BB6_758 Depth=3
	s_or_b32 exec_lo, exec_lo, s40
.LBB6_880:                              ;   in Loop: Header=BB6_758 Depth=3
	s_delay_alu instid0(SALU_CYCLE_1) | instskip(SKIP_3) | instid1(VALU_DEP_1)
	s_or_b32 exec_lo, exec_lo, s15
	v_dual_mov_b32 v113, 0 :: v_dual_bitop2_b32 v9, 12, v103 bitop3:0x40
	s_mov_b32 s15, 0
	s_mov_b32 s40, exec_lo
                                        ; implicit-def: $vgpr42
                                        ; implicit-def: $vgpr8
	v_cndmask_b32_e32 v103, v41, v9, vcc_lo
	s_delay_alu instid0(VALU_DEP_1)
	v_cmpx_ne_u32_e32 0, v103
	s_cbranch_execz .LBB6_882
; %bb.881:                              ;   in Loop: Header=BB6_758 Depth=3
	v_cmp_lt_i32_e64 s13, 0, v43
	s_mov_b32 s15, exec_lo
	v_dual_sub_nc_u32 v9, v41, v9 :: v_dual_cndmask_b32 v8, 0, v32, s13
	s_delay_alu instid0(VALU_DEP_1) | instskip(NEXT) | instid1(VALU_DEP_1)
	v_dual_cndmask_b32 v9, 0, v9 :: v_dual_sub_nc_u32 v8, v8, v43
	v_add3_u32 v113, v11, v10, v9
	s_delay_alu instid0(VALU_DEP_2) | instskip(NEXT) | instid1(VALU_DEP_1)
	v_lshl_add_u32 v42, v8, 5, v40
	v_ashrrev_i32_e32 v8, 31, v42
	s_delay_alu instid0(VALU_DEP_1) | instskip(NEXT) | instid1(VALU_DEP_1)
	v_lshrrev_b32_e32 v8, 27, v8
	v_add_nc_u32_e32 v8, v42, v8
	s_delay_alu instid0(VALU_DEP_1)
	v_ashrrev_i32_e32 v8, 5, v8
.LBB6_882:                              ;   in Loop: Header=BB6_758 Depth=3
	s_or_b32 exec_lo, exec_lo, s40
	s_delay_alu instid0(SALU_CYCLE_1)
	s_and_b32 s15, s15, exec_lo
.LBB6_883:                              ;   in Loop: Header=BB6_758 Depth=3
	s_or_b32 exec_lo, exec_lo, s14
	s_and_saveexec_b32 s13, s15
	s_cbranch_execz .LBB6_892
.LBB6_884:                              ;   in Loop: Header=BB6_758 Depth=3
	v_ashrrev_i32_e32 v9, 31, v103
	s_mov_b32 s14, exec_lo
	s_delay_alu instid0(VALU_DEP_1) | instskip(NEXT) | instid1(VALU_DEP_1)
	v_lshrrev_b32_e32 v9, 22, v9
	v_add_nc_u32_e32 v9, v103, v9
	s_delay_alu instid0(VALU_DEP_1) | instskip(NEXT) | instid1(VALU_DEP_1)
	v_ashrrev_i32_e32 v44, 10, v9
	v_sub_nc_u32_e32 v43, v44, v8
	s_delay_alu instid0(VALU_DEP_1)
	v_cmpx_lt_i32_e32 0, v43
	s_cbranch_execz .LBB6_888
; %bb.885:                              ;   in Loop: Header=BB6_758 Depth=3
	v_dual_ashrrev_i32 v9, 31, v42 :: v_dual_lshlrev_b32 v8, 10, v8
	v_mov_b64_e32 v[10:11], v[118:119]
	v_mov_b64_e32 v[40:41], v[116:117]
	s_mov_b32 s15, 0
	s_delay_alu instid0(VALU_DEP_3) | instskip(NEXT) | instid1(VALU_DEP_1)
	v_lshrrev_b32_e32 v9, 27, v9
	v_add_nc_u32_e32 v9, v42, v9
	s_delay_alu instid0(VALU_DEP_1) | instskip(NEXT) | instid1(VALU_DEP_1)
	v_and_b32_e32 v9, 0x3fffffe0, v9
	v_sub_nc_u32_e32 v9, v42, v9
	s_delay_alu instid0(VALU_DEP_1) | instskip(NEXT) | instid1(VALU_DEP_1)
	v_lshlrev_b32_e32 v9, 2, v9
	v_add3_u32 v8, v9, v113, v8
	s_delay_alu instid0(VALU_DEP_1)
	v_ashrrev_i32_e32 v9, 31, v8
.LBB6_886:                              ;   Parent Loop BB6_47 Depth=1
                                        ;     Parent Loop BB6_755 Depth=2
                                        ;       Parent Loop BB6_758 Depth=3
                                        ; =>      This Inner Loop Header: Depth=4
	s_delay_alu instid0(VALU_DEP_1)
	v_add_nc_u64_e32 v[16:17], v[8:9], v[40:41]
	v_sub_nc_u32_e32 v43, v43, v32
	v_add_nc_u64_e32 v[40:41], v[40:41], v[52:53]
	s_clause 0x7
	flat_load_b32 v18, v[16:17] th:TH_LOAD_NT
	flat_load_b32 v19, v[16:17] offset:128 th:TH_LOAD_NT
	flat_load_b32 v36, v[16:17] offset:256 th:TH_LOAD_NT
	;; [unrolled: 1-line block ×7, first 2 shown]
	s_wait_xcnt 0x0
	v_add_nc_u64_e32 v[16:17], v[8:9], v[10:11]
	v_add_nc_u64_e32 v[10:11], v[10:11], v[52:53]
	v_cmp_gt_i32_e32 vcc_lo, 1, v43
	s_wait_loadcnt_dscnt 0x707
	flat_store_b32 v[16:17], v18 th:TH_STORE_NT
	s_wait_loadcnt_dscnt 0x607
	flat_store_b32 v[16:17], v19 offset:128 th:TH_STORE_NT
	s_wait_loadcnt_dscnt 0x507
	flat_store_b32 v[16:17], v36 offset:256 th:TH_STORE_NT
	;; [unrolled: 2-line block ×7, first 2 shown]
	s_or_b32 s15, vcc_lo, s15
	s_wait_xcnt 0x0
	s_and_not1_b32 exec_lo, exec_lo, s15
	s_cbranch_execnz .LBB6_886
; %bb.887:                              ;   in Loop: Header=BB6_758 Depth=3
	s_or_b32 exec_lo, exec_lo, s15
.LBB6_888:                              ;   in Loop: Header=BB6_758 Depth=3
	s_delay_alu instid0(SALU_CYCLE_1) | instskip(SKIP_1) | instid1(VALU_DEP_1)
	s_or_b32 exec_lo, exec_lo, s14
	v_lshlrev_b32_e32 v8, 10, v44
	v_cmp_ne_u32_e32 vcc_lo, v103, v8
	s_and_b32 exec_lo, exec_lo, vcc_lo
	s_cbranch_execz .LBB6_892
; %bb.889:                              ;   in Loop: Header=BB6_758 Depth=3
	v_dual_ashrrev_i32 v9, 31, v42 :: v_dual_lshlrev_b32 v10, 5, v43
	s_delay_alu instid0(VALU_DEP_1) | instskip(NEXT) | instid1(VALU_DEP_1)
	v_lshrrev_b32_e32 v9, 27, v9
	v_add_nc_u32_e32 v9, v42, v9
	s_delay_alu instid0(VALU_DEP_1) | instskip(NEXT) | instid1(VALU_DEP_1)
	v_and_b32_e32 v9, 0xffffffe0, v9
	v_sub_nc_u32_e32 v9, v42, v9
	s_delay_alu instid0(VALU_DEP_1) | instskip(NEXT) | instid1(VALU_DEP_1)
	v_sub_nc_u32_e32 v9, v9, v10
	v_ashrrev_i32_e32 v10, 31, v9
	s_delay_alu instid0(VALU_DEP_1) | instskip(NEXT) | instid1(VALU_DEP_1)
	v_lshrrev_b32_e32 v10, 27, v10
	v_add_nc_u32_e32 v10, v9, v10
	s_delay_alu instid0(VALU_DEP_1) | instskip(NEXT) | instid1(VALU_DEP_1)
	v_and_b32_e32 v11, 0x3fffffe0, v10
	v_sub_nc_u32_e32 v9, v9, v11
	s_delay_alu instid0(VALU_DEP_1) | instskip(NEXT) | instid1(VALU_DEP_1)
	v_dual_lshlrev_b32 v9, 2, v9 :: v_dual_lshlrev_b32 v10, 2, v10
	v_and_b32_e32 v10, 0xffffff80, v10
	s_delay_alu instid0(VALU_DEP_1) | instskip(NEXT) | instid1(VALU_DEP_1)
	v_add3_u32 v8, v10, v9, v8
	v_sub_nc_u32_e32 v10, v103, v8
	s_delay_alu instid0(VALU_DEP_1)
	v_cmp_lt_i32_e32 vcc_lo, 3, v10
	s_and_b32 exec_lo, exec_lo, vcc_lo
	s_cbranch_execz .LBB6_892
; %bb.890:                              ;   in Loop: Header=BB6_758 Depth=3
	v_add_nc_u32_e32 v8, v8, v113
	s_mov_b32 s14, 0
	s_delay_alu instid0(VALU_DEP_1)
	v_ashrrev_i32_e32 v9, 31, v8
.LBB6_891:                              ;   Parent Loop BB6_47 Depth=1
                                        ;     Parent Loop BB6_755 Depth=2
                                        ;       Parent Loop BB6_758 Depth=3
                                        ; =>      This Inner Loop Header: Depth=4
	s_delay_alu instid0(VALU_DEP_1) | instskip(SKIP_1) | instid1(VALU_DEP_1)
	v_add_nc_u64_e32 v[16:17], v[116:117], v[8:9]
	v_sub_nc_u32_e32 v10, v10, v54
	v_cmp_gt_i32_e32 vcc_lo, 4, v10
	flat_load_b32 v11, v[16:17] th:TH_LOAD_NT
	s_wait_xcnt 0x0
	v_add_nc_u64_e32 v[16:17], v[118:119], v[8:9]
	v_add_nc_u64_e32 v[8:9], v[8:9], v[54:55]
	s_or_b32 s14, vcc_lo, s14
	s_wait_loadcnt_dscnt 0x0
	flat_store_b32 v[16:17], v11 th:TH_STORE_NT
	s_wait_xcnt 0x0
	s_and_not1_b32 exec_lo, exec_lo, s14
	s_cbranch_execnz .LBB6_891
.LBB6_892:                              ;   in Loop: Header=BB6_758 Depth=3
	s_or_b32 exec_lo, exec_lo, s13
.LBB6_893:                              ;   in Loop: Header=BB6_758 Depth=3
	v_cmp_lt_i32_e64 s13, 0, v2
	s_and_saveexec_b32 s14, s2
	s_cbranch_execz .LBB6_834
.LBB6_894:                              ;   in Loop: Header=BB6_758 Depth=3
	s_and_saveexec_b32 s15, s3
	s_delay_alu instid0(SALU_CYCLE_1)
	s_xor_b32 s15, exec_lo, s15
	s_cbranch_execz .LBB6_909
; %bb.895:                              ;   in Loop: Header=BB6_758 Depth=3
	s_and_saveexec_b32 s40, s6
	s_cbranch_execz .LBB6_908
; %bb.896:                              ;   in Loop: Header=BB6_758 Depth=3
	s_mov_b32 s63, exec_lo
	s_mov_b32 s41, exec_lo
	v_mbcnt_lo_u32_b32 v2, s63, 0
	global_wb scope:SCOPE_DEV
	s_wait_storecnt 0x0
	s_wait_loadcnt_dscnt 0x0
	global_inv scope:SCOPE_DEV
	v_cmpx_eq_u32_e32 0, v2
	s_cbranch_execz .LBB6_898
; %bb.897:                              ;   in Loop: Header=BB6_758 Depth=3
	s_bcnt1_i32_b32 s63, s63
	s_delay_alu instid0(SALU_CYCLE_1)
	v_mov_b32_e32 v2, s63
	s_wait_loadcnt 0x0
	ds_add_u64 v0, v[2:3]
	s_trap 2
.LBB6_898:                              ;   in Loop: Header=BB6_758 Depth=3
	s_or_b32 exec_lo, exec_lo, s41
	s_trap 2
	ds_load_b64 v[8:9], v0
	s_wait_dscnt 0x0
	v_add_nc_u64_e32 v[12:13], v[12:13], v[32:33]
	s_mov_b32 s41, exec_lo
	s_delay_alu instid0(VALU_DEP_1)
	v_cmpx_lt_u64_e64 v[8:9], v[12:13]
	s_cbranch_execz .LBB6_907
; %bb.899:                              ;   in Loop: Header=BB6_758 Depth=3
	s_mov_b32 s63, 0
	s_mov_b32 s74, 0
                                        ; implicit-def: $sgpr72
                                        ; implicit-def: $sgpr73
	s_branch .LBB6_901
.LBB6_900:                              ;   in Loop: Header=BB6_901 Depth=4
	s_or_b32 exec_lo, exec_lo, s76
	s_delay_alu instid0(SALU_CYCLE_1) | instskip(NEXT) | instid1(SALU_CYCLE_1)
	s_and_b32 s75, exec_lo, s77
	s_or_b32 s63, s75, s63
	s_and_not1_b32 s72, s72, exec_lo
	s_and_b32 s75, s73, exec_lo
	s_delay_alu instid0(SALU_CYCLE_1)
	s_or_b32 s72, s72, s75
	s_and_not1_b32 exec_lo, exec_lo, s63
	s_cbranch_execz .LBB6_905
.LBB6_901:                              ;   Parent Loop BB6_47 Depth=1
                                        ;     Parent Loop BB6_755 Depth=2
                                        ;       Parent Loop BB6_758 Depth=3
                                        ; =>      This Inner Loop Header: Depth=4
	s_add_co_i32 s74, s74, 1
	s_delay_alu instid0(SALU_CYCLE_1) | instskip(SKIP_1) | instid1(SALU_CYCLE_1)
	s_cmp_lg_u32 s74, 0x2710
	s_cselect_b32 s75, -1, 0
	s_and_b32 vcc_lo, exec_lo, s75
	s_cbranch_vccz .LBB6_903
; %bb.902:                              ;   in Loop: Header=BB6_901 Depth=4
	s_mov_b32 s77, -1
	s_or_b32 s73, s73, exec_lo
	s_and_saveexec_b32 s76, s75
	s_cbranch_execz .LBB6_900
	s_branch .LBB6_904
.LBB6_903:                              ;   in Loop: Header=BB6_901 Depth=4
	s_trap 2
	ds_load_b64 v[8:9], v0
	s_and_not1_b32 s75, s75, exec_lo
	s_mov_b32 s74, 0
	s_wait_loadcnt_dscnt 0x0
	flat_load_b32 v2, v[8:9] scope:SCOPE_SYS
	s_wait_loadcnt_dscnt 0x0
	global_inv scope:SCOPE_SYS
	v_cmp_eq_u32_e32 vcc_lo, 0, v2
	s_and_b32 s76, vcc_lo, exec_lo
	s_delay_alu instid0(SALU_CYCLE_1)
	s_or_b32 s75, s75, s76
	s_mov_b32 s77, -1
	s_or_b32 s73, s73, exec_lo
	s_and_saveexec_b32 s76, s75
	s_cbranch_execz .LBB6_900
.LBB6_904:                              ;   in Loop: Header=BB6_901 Depth=4
	s_sleep 1
	s_trap 2
	ds_load_b64 v[8:9], v0
	s_wait_dscnt 0x0
	s_and_not1_b32 s73, s73, exec_lo
	v_cmp_ge_u64_e32 vcc_lo, v[8:9], v[12:13]
	s_or_not1_b32 s77, vcc_lo, exec_lo
	s_branch .LBB6_900
.LBB6_905:                              ;   in Loop: Header=BB6_758 Depth=3
	s_or_b32 exec_lo, exec_lo, s63
	s_and_saveexec_b32 s63, s72
	s_delay_alu instid0(SALU_CYCLE_1)
	s_xor_b32 s63, exec_lo, s63
	s_cbranch_execz .LBB6_907
; %bb.906:                              ;   in Loop: Header=BB6_758 Depth=3
	ds_store_b32 v0, v59
	s_trap 2
.LBB6_907:                              ;   in Loop: Header=BB6_758 Depth=3
	s_or_b32 exec_lo, exec_lo, s41
	;;#ASMSTART
	s_wakeup
	;;#ASMEND
.LBB6_908:                              ;   in Loop: Header=BB6_758 Depth=3
	s_or_b32 exec_lo, exec_lo, s40
.LBB6_909:                              ;   in Loop: Header=BB6_758 Depth=3
	s_and_not1_saveexec_b32 s15, s15
	s_cbranch_execz .LBB6_911
; %bb.910:                              ;   in Loop: Header=BB6_758 Depth=3
	global_wb scope:SCOPE_DEV
	s_wait_storecnt 0x0
	s_wait_loadcnt_dscnt 0x0
	global_inv scope:SCOPE_DEV
	s_barrier_signal -1
	s_barrier_wait -1
.LBB6_911:                              ;   in Loop: Header=BB6_758 Depth=3
	s_or_b32 exec_lo, exec_lo, s15
	s_delay_alu instid0(SALU_CYCLE_1) | instskip(SKIP_1) | instid1(SALU_CYCLE_1)
	s_or_b32 exec_lo, exec_lo, s14
                                        ; implicit-def: $vgpr2
	s_and_saveexec_b32 s14, s10
	s_xor_b32 s14, exec_lo, s14
	s_cbranch_execnz .LBB6_835
.LBB6_912:                              ;   in Loop: Header=BB6_758 Depth=3
	s_and_not1_saveexec_b32 s13, s14
	s_cbranch_execz .LBB6_931
.LBB6_913:                              ;   in Loop: Header=BB6_758 Depth=3
	s_and_saveexec_b32 s14, s3
	s_delay_alu instid0(SALU_CYCLE_1)
	s_xor_b32 s14, exec_lo, s14
	s_cbranch_execz .LBB6_928
; %bb.914:                              ;   in Loop: Header=BB6_758 Depth=3
	s_and_saveexec_b32 s15, s6
	s_cbranch_execz .LBB6_927
; %bb.915:                              ;   in Loop: Header=BB6_758 Depth=3
	s_mov_b32 s41, exec_lo
	s_mov_b32 s40, exec_lo
	v_mbcnt_lo_u32_b32 v2, s41, 0
	;;#ASMSTART
	s_waitcnt lgkmcnt(0) vmcnt(0)
	;;#ASMEND
	s_delay_alu instid0(VALU_DEP_1)
	v_cmpx_eq_u32_e32 0, v2
	s_cbranch_execz .LBB6_917
; %bb.916:                              ;   in Loop: Header=BB6_758 Depth=3
	s_bcnt1_i32_b32 s41, s41
	s_delay_alu instid0(SALU_CYCLE_1)
	v_mov_b32_e32 v2, s41
	s_wait_storecnt 0x0
	s_wait_loadcnt_dscnt 0x0
	ds_add_u64 v0, v[2:3]
	s_trap 2
.LBB6_917:                              ;   in Loop: Header=BB6_758 Depth=3
	s_or_b32 exec_lo, exec_lo, s40
	s_trap 2
	ds_load_b64 v[8:9], v0
	s_wait_dscnt 0x0
	v_add_nc_u64_e32 v[12:13], v[12:13], v[32:33]
	s_mov_b32 s40, exec_lo
	s_delay_alu instid0(VALU_DEP_1)
	v_cmpx_lt_u64_e64 v[8:9], v[12:13]
	s_cbranch_execz .LBB6_926
; %bb.918:                              ;   in Loop: Header=BB6_758 Depth=3
	s_mov_b32 s41, 0
	s_mov_b32 s73, 0
                                        ; implicit-def: $sgpr63
                                        ; implicit-def: $sgpr72
	s_branch .LBB6_920
.LBB6_919:                              ;   in Loop: Header=BB6_920 Depth=4
	s_or_b32 exec_lo, exec_lo, s75
	s_delay_alu instid0(SALU_CYCLE_1) | instskip(NEXT) | instid1(SALU_CYCLE_1)
	s_and_b32 s74, exec_lo, s76
	s_or_b32 s41, s74, s41
	s_and_not1_b32 s63, s63, exec_lo
	s_and_b32 s74, s72, exec_lo
	s_delay_alu instid0(SALU_CYCLE_1)
	s_or_b32 s63, s63, s74
	s_and_not1_b32 exec_lo, exec_lo, s41
	s_cbranch_execz .LBB6_924
.LBB6_920:                              ;   Parent Loop BB6_47 Depth=1
                                        ;     Parent Loop BB6_755 Depth=2
                                        ;       Parent Loop BB6_758 Depth=3
                                        ; =>      This Inner Loop Header: Depth=4
	s_add_co_i32 s73, s73, 1
	s_delay_alu instid0(SALU_CYCLE_1) | instskip(SKIP_1) | instid1(SALU_CYCLE_1)
	s_cmp_lg_u32 s73, 0x2710
	s_cselect_b32 s74, -1, 0
	s_and_b32 vcc_lo, exec_lo, s74
	s_cbranch_vccz .LBB6_922
; %bb.921:                              ;   in Loop: Header=BB6_920 Depth=4
	s_mov_b32 s76, -1
	s_or_b32 s72, s72, exec_lo
	s_and_saveexec_b32 s75, s74
	s_cbranch_execz .LBB6_919
	s_branch .LBB6_923
.LBB6_922:                              ;   in Loop: Header=BB6_920 Depth=4
	s_trap 2
	ds_load_b64 v[8:9], v0
	s_and_not1_b32 s74, s74, exec_lo
	s_mov_b32 s73, 0
	s_wait_storecnt 0x0
	s_wait_loadcnt_dscnt 0x0
	flat_load_b32 v2, v[8:9] scope:SCOPE_SYS
	s_wait_loadcnt_dscnt 0x0
	global_inv scope:SCOPE_SYS
	v_cmp_eq_u32_e32 vcc_lo, 0, v2
	s_and_b32 s75, vcc_lo, exec_lo
	s_delay_alu instid0(SALU_CYCLE_1)
	s_or_b32 s74, s74, s75
	s_mov_b32 s76, -1
	s_or_b32 s72, s72, exec_lo
	s_and_saveexec_b32 s75, s74
	s_cbranch_execz .LBB6_919
.LBB6_923:                              ;   in Loop: Header=BB6_920 Depth=4
	s_sleep 1
	s_trap 2
	ds_load_b64 v[8:9], v0
	s_wait_dscnt 0x0
	s_and_not1_b32 s72, s72, exec_lo
	v_cmp_ge_u64_e32 vcc_lo, v[8:9], v[12:13]
	s_or_not1_b32 s76, vcc_lo, exec_lo
	s_branch .LBB6_919
.LBB6_924:                              ;   in Loop: Header=BB6_758 Depth=3
	s_or_b32 exec_lo, exec_lo, s41
	s_and_saveexec_b32 s41, s63
	s_delay_alu instid0(SALU_CYCLE_1)
	s_xor_b32 s41, exec_lo, s41
	s_cbranch_execz .LBB6_926
; %bb.925:                              ;   in Loop: Header=BB6_758 Depth=3
	ds_store_b32 v0, v59
	s_trap 2
.LBB6_926:                              ;   in Loop: Header=BB6_758 Depth=3
	s_or_b32 exec_lo, exec_lo, s40
	;;#ASMSTART
	s_wakeup
	;;#ASMEND
.LBB6_927:                              ;   in Loop: Header=BB6_758 Depth=3
	s_or_b32 exec_lo, exec_lo, s15
.LBB6_928:                              ;   in Loop: Header=BB6_758 Depth=3
	s_and_not1_saveexec_b32 s14, s14
	s_cbranch_execz .LBB6_930
; %bb.929:                              ;   in Loop: Header=BB6_758 Depth=3
	;;#ASMSTART
	s_waitcnt lgkmcnt(0) vmcnt(0)
	;;#ASMEND
	s_barrier_signal -1
	s_barrier_wait -1
.LBB6_930:                              ;   in Loop: Header=BB6_758 Depth=3
	s_or_b32 exec_lo, exec_lo, s14
	v_and_b32_e32 v2, 16, v30
.LBB6_931:                              ;   in Loop: Header=BB6_758 Depth=3
	s_or_b32 exec_lo, exec_lo, s13
	s_delay_alu instid0(VALU_DEP_1) | instskip(SKIP_1) | instid1(SALU_CYCLE_1)
	v_cmp_ne_u32_e32 vcc_lo, 0, v2
	s_xor_b32 s13, s4, -1
	s_and_b32 s14, vcc_lo, s13
	s_delay_alu instid0(SALU_CYCLE_1)
	s_and_saveexec_b32 s13, s14
	s_cbranch_execz .LBB6_933
; %bb.932:                              ;   in Loop: Header=BB6_758 Depth=3
	global_wb scope:SCOPE_SYS
	s_wait_storecnt 0x0
	s_wait_loadcnt_dscnt 0x0
	flat_store_b32 v[26:27], v59 scope:SCOPE_SYS
.LBB6_933:                              ;   in Loop: Header=BB6_758 Depth=3
	s_wait_xcnt 0x0
	s_or_b32 exec_lo, exec_lo, s13
	v_and_b32_e32 v2, 48, v30
	s_mov_b32 s13, exec_lo
	s_delay_alu instid0(VALU_DEP_1)
	v_cmpx_ne_u32_e32 0, v2
	s_cbranch_execz .LBB6_757
; %bb.934:                              ;   in Loop: Header=BB6_758 Depth=3
	v_add_nc_u64_e32 v[96:97], 2, v[96:97]
	global_wb scope:SCOPE_SYS
	s_wait_storecnt 0x0
	s_wait_loadcnt_dscnt 0x0
	flat_store_b64 v[20:21], v[96:97] scope:SCOPE_SYS
	s_branch .LBB6_757
.LBB6_935:                              ;   in Loop: Header=BB6_755 Depth=2
	s_or_b32 exec_lo, exec_lo, s60
.LBB6_936:                              ;   in Loop: Header=BB6_755 Depth=2
	s_delay_alu instid0(SALU_CYCLE_1) | instskip(NEXT) | instid1(SALU_CYCLE_1)
	s_or_b32 exec_lo, exec_lo, s27
	s_mov_b32 s14, exec_lo
	v_cmpx_gt_i32_e32 2, v2
	s_cbranch_execz .LBB6_1012
; %bb.937:                              ;   in Loop: Header=BB6_755 Depth=2
	v_cmp_eq_u32_e64 s27, 0, v2
	s_mov_b32 s15, 0
	s_branch .LBB6_939
.LBB6_938:                              ;   in Loop: Header=BB6_939 Depth=3
	s_wait_xcnt 0x0
	s_or_b32 exec_lo, exec_lo, s13
	v_add_nc_u32_e32 v112, v102, v112
	s_mov_b32 s27, 0
	s_and_not1_b32 exec_lo, exec_lo, s15
	s_cbranch_execz .LBB6_1011
.LBB6_939:                              ;   Parent Loop BB6_47 Depth=1
                                        ;     Parent Loop BB6_755 Depth=2
                                        ; =>    This Loop Header: Depth=3
                                        ;         Child Loop BB6_945 Depth 4
                                        ;         Child Loop BB6_973 Depth 4
	;; [unrolled: 1-line block ×3, first 2 shown]
	s_delay_alu instid0(VALU_DEP_1) | instskip(SKIP_1) | instid1(VALU_DEP_1)
	v_dual_sub_nc_u32 v2, v56, v112 :: v_dual_bitop2_b32 v8, 12, v30 bitop3:0x40
	s_mov_b32 s40, exec_lo
	v_min_i32_e32 v102, v102, v2
	s_delay_alu instid0(VALU_DEP_2)
	v_cmpx_ne_u32_e32 0, v8
	s_cbranch_execz .LBB6_965
; %bb.940:                              ;   in Loop: Header=BB6_939 Depth=3
	v_and_b32_e32 v2, 8, v30
	v_add_nc_u64_e32 v[8:9], 2, v[96:97]
	s_mov_b32 s41, exec_lo
	s_wait_loadcnt_dscnt 0x1
	s_delay_alu instid0(VALU_DEP_2) | instskip(NEXT) | instid1(VALU_DEP_1)
	v_add_nc_u64_e32 v[10:11], v[28:29], v[2:3]
	v_cmpx_lt_u64_e64 v[10:11], v[8:9]
	s_cbranch_execz .LBB6_952
; %bb.941:                              ;   in Loop: Header=BB6_939 Depth=3
	v_and_b32_e32 v10, 64, v30
	s_mov_b32 s60, 0
	s_mov_b32 s72, 0
                                        ; implicit-def: $sgpr61
                                        ; implicit-def: $sgpr62
                                        ; implicit-def: $sgpr63
	s_delay_alu instid0(VALU_DEP_1)
	v_cmp_eq_u32_e32 vcc_lo, 0, v10
	s_branch .LBB6_945
.LBB6_942:                              ;   in Loop: Header=BB6_945 Depth=4
	s_wait_loadcnt_dscnt 0x0
	v_add_nc_u64_e32 v[16:17], v[28:29], v[2:3]
	s_or_b32 s75, s75, exec_lo
	s_delay_alu instid0(VALU_DEP_1)
	v_cmp_ge_u64_e64 s13, v[16:17], v[8:9]
	s_or_not1_b32 s74, s13, exec_lo
.LBB6_943:                              ;   in Loop: Header=BB6_945 Depth=4
	s_or_b32 exec_lo, exec_lo, s77
	s_delay_alu instid0(SALU_CYCLE_1)
	s_and_not1_b32 s13, s63, exec_lo
	s_and_b32 s63, s75, exec_lo
	s_and_not1_b32 s62, s62, exec_lo
	s_and_b32 s74, s74, exec_lo
	s_or_b32 s63, s13, s63
	s_or_b32 s62, s62, s74
.LBB6_944:                              ;   in Loop: Header=BB6_945 Depth=4
	s_or_b32 exec_lo, exec_lo, s73
	s_delay_alu instid0(SALU_CYCLE_1) | instskip(NEXT) | instid1(SALU_CYCLE_1)
	s_and_b32 s13, exec_lo, s62
	s_or_b32 s60, s13, s60
	s_and_not1_b32 s13, s61, exec_lo
	s_and_b32 s61, s63, exec_lo
	s_delay_alu instid0(SALU_CYCLE_1)
	s_or_b32 s61, s13, s61
	s_and_not1_b32 exec_lo, exec_lo, s60
	s_cbranch_execz .LBB6_949
.LBB6_945:                              ;   Parent Loop BB6_47 Depth=1
                                        ;     Parent Loop BB6_755 Depth=2
                                        ;       Parent Loop BB6_939 Depth=3
                                        ; =>      This Inner Loop Header: Depth=4
	s_sleep 1
	s_wait_loadcnt_dscnt 0x0
	flat_load_b64 v[28:29], v[20:21] scope:SCOPE_SYS
	s_or_b32 s63, s63, exec_lo
	s_or_b32 s62, s62, exec_lo
                                        ; implicit-def: $vgpr10
	s_wait_xcnt 0x0
	s_and_saveexec_b32 s73, vcc_lo
	s_cbranch_execz .LBB6_944
; %bb.946:                              ;   in Loop: Header=BB6_945 Depth=4
	s_cmp_lt_i32 s72, 0x270f
	s_mov_b32 s74, -1
	s_cselect_b32 s76, -1, 0
	s_cmp_gt_i32 s72, 0x270e
	s_cbranch_scc0 .LBB6_948
; %bb.947:                              ;   in Loop: Header=BB6_945 Depth=4
	s_trap 2
	ds_load_b64 v[10:11], v0
	s_and_not1_b32 s72, s76, exec_lo
	s_mov_b32 s75, 0
	s_wait_storecnt 0x0
	s_wait_loadcnt_dscnt 0x0
	flat_load_b32 v10, v[10:11] scope:SCOPE_SYS
	s_wait_loadcnt_dscnt 0x0
	global_inv scope:SCOPE_SYS
	v_cmp_eq_u32_e64 s13, 0, v10
	s_and_b32 s13, s13, exec_lo
	s_delay_alu instid0(SALU_CYCLE_1)
	s_or_b32 s76, s72, s13
	s_mov_b32 s72, 0
	s_and_saveexec_b32 s77, s76
	s_cbranch_execz .LBB6_943
	s_branch .LBB6_942
.LBB6_948:                              ;   in Loop: Header=BB6_945 Depth=4
	s_add_co_i32 s72, s72, 1
	s_mov_b32 s75, -1
                                        ; implicit-def: $vgpr10
	s_and_saveexec_b32 s77, s76
	s_cbranch_execz .LBB6_943
	s_branch .LBB6_942
.LBB6_949:                              ;   in Loop: Header=BB6_939 Depth=3
	s_or_b32 exec_lo, exec_lo, s60
	s_xor_b32 s13, s61, -1
	s_delay_alu instid0(SALU_CYCLE_1) | instskip(NEXT) | instid1(SALU_CYCLE_1)
	s_and_saveexec_b32 s60, s13
	s_xor_b32 s13, exec_lo, s60
	s_cbranch_execz .LBB6_951
; %bb.950:                              ;   in Loop: Header=BB6_939 Depth=3
	v_or_b32_e32 v30, 64, v30
	s_wait_storecnt 0x0
	s_wait_loadcnt_dscnt 0x0
	ds_store_b32 v0, v10
	s_trap 2
.LBB6_951:                              ;   in Loop: Header=BB6_939 Depth=3
	s_or_b32 exec_lo, exec_lo, s13
.LBB6_952:                              ;   in Loop: Header=BB6_939 Depth=3
	s_delay_alu instid0(SALU_CYCLE_1) | instskip(SKIP_2) | instid1(VALU_DEP_1)
	s_or_b32 exec_lo, exec_lo, s41
	v_and_b32_e32 v10, 0x108, v30
	;;#ASMSTART
	s_wakeup
	;;#ASMEND
	v_cmp_ne_u32_e32 vcc_lo, 0x108, v10
                                        ; implicit-def: $vgpr10_vgpr11
	s_and_saveexec_b32 s13, vcc_lo
	s_delay_alu instid0(SALU_CYCLE_1)
	s_xor_b32 s13, exec_lo, s13
; %bb.953:                              ;   in Loop: Header=BB6_939 Depth=3
	v_dual_mov_b32 v11, v3 :: v_dual_bitop2_b32 v10, 7, v96 bitop3:0x40
                                        ; implicit-def: $vgpr96_vgpr97
; %bb.954:                              ;   in Loop: Header=BB6_939 Depth=3
	s_and_not1_saveexec_b32 s13, s13
	s_cbranch_execz .LBB6_956
; %bb.955:                              ;   in Loop: Header=BB6_939 Depth=3
	v_dual_ashrrev_i32 v103, 31, v102 :: v_dual_bitop2_b32 v10, 7, v96 bitop3:0x40
	v_mov_b32_e32 v11, v3
	s_delay_alu instid0(VALU_DEP_2) | instskip(NEXT) | instid1(VALU_DEP_3)
	v_mad_nc_u64_u32 v[16:17], v10, 24, v[6:7]
	v_lshlrev_b64_e32 v[18:19], 2, v[102:103]
	flat_store_b64 v[16:17], v[18:19] offset:8
.LBB6_956:                              ;   in Loop: Header=BB6_939 Depth=3
	s_wait_xcnt 0x0
	s_or_b32 exec_lo, exec_lo, s13
	v_and_b32_e32 v16, 0x100, v30
	s_mov_b32 s13, -1
	s_mov_b32 s41, exec_lo
                                        ; implicit-def: $vgpr96_vgpr97
	s_delay_alu instid0(VALU_DEP_1)
	v_cmpx_ne_u32_e32 0, v16
	s_cbranch_execz .LBB6_960
; %bb.957:                              ;   in Loop: Header=BB6_939 Depth=3
	v_mad_nc_u64_u32 v[114:115], v10, 24, v[6:7]
	s_mov_b32 s60, exec_lo
                                        ; implicit-def: $vgpr96_vgpr97
	s_delay_alu instid0(VALU_DEP_1)
	v_mad_u32 v115, v11, 24, v115
	flat_load_b32 v16, v[114:115]
	s_wait_loadcnt_dscnt 0x0
	v_cmp_ne_u32_e32 vcc_lo, 1, v16
	s_wait_xcnt 0x0
	v_cmpx_eq_u32_e32 1, v16
	s_cbranch_execz .LBB6_959
; %bb.958:                              ;   in Loop: Header=BB6_939 Depth=3
	flat_load_b32 v16, v[114:115] offset:4 scope:SCOPE_SYS
	s_wait_loadcnt_dscnt 0x0
	v_ashrrev_i32_e32 v17, 31, v16
	s_delay_alu instid0(VALU_DEP_1)
	v_lshrrev_b64 v[96:97], 2, v[16:17]
.LBB6_959:                              ;   in Loop: Header=BB6_939 Depth=3
	s_wait_xcnt 0x0
	s_or_b32 exec_lo, exec_lo, s60
	s_delay_alu instid0(SALU_CYCLE_1)
	s_or_not1_b32 s13, vcc_lo, exec_lo
.LBB6_960:                              ;   in Loop: Header=BB6_939 Depth=3
	s_or_b32 exec_lo, exec_lo, s41
	s_and_saveexec_b32 s41, s13
; %bb.961:                              ;   in Loop: Header=BB6_939 Depth=3
	v_mul_u64_e32 v[96:97], v[10:11], v[22:23]
; %bb.962:                              ;   in Loop: Header=BB6_939 Depth=3
	s_or_b32 exec_lo, exec_lo, s41
	v_cmp_eq_u32_e32 vcc_lo, 0, v2
	v_and_b32_e32 v16, 0x2000, v30
	s_delay_alu instid0(VALU_DEP_3) | instskip(SKIP_2) | instid1(VALU_DEP_1)
	v_lshl_add_u64 v[10:11], v[96:97], 2, v[24:25]
	s_mov_b32 s13, exec_lo
	v_cndmask_b32_e32 v2, 0xd0, v61, vcc_lo
	v_add_nc_u32_e32 v2, v0, v2
	ds_store_b64 v2, v[10:11] offset:584
	v_cmpx_ne_u32_e32 0, v16
	s_cbranch_execz .LBB6_964
; %bb.963:                              ;   in Loop: Header=BB6_939 Depth=3
	ds_load_b64 v[10:11], v0 offset:872
	s_wait_dscnt 0x0
	v_add_nc_u64_e32 v[10:11], 1, v[10:11]
	ds_store_b64 v0, v[10:11] offset:872
.LBB6_964:                              ;   in Loop: Header=BB6_939 Depth=3
	s_or_b32 exec_lo, exec_lo, s13
	v_mov_b64_e32 v[96:97], v[8:9]
.LBB6_965:                              ;   in Loop: Header=BB6_939 Depth=3
	s_or_b32 exec_lo, exec_lo, s40
	s_xor_b32 s13, s27, -1
	s_delay_alu instid0(SALU_CYCLE_1) | instskip(NEXT) | instid1(SALU_CYCLE_1)
	s_and_b32 s13, exec_lo, s13
	s_or_b32 s15, s13, s15
	s_and_saveexec_b32 s13, s2
	s_cbranch_execz .LBB6_984
; %bb.966:                              ;   in Loop: Header=BB6_939 Depth=3
	s_and_saveexec_b32 s27, s3
	s_delay_alu instid0(SALU_CYCLE_1)
	s_xor_b32 s27, exec_lo, s27
	s_cbranch_execz .LBB6_981
; %bb.967:                              ;   in Loop: Header=BB6_939 Depth=3
	s_and_saveexec_b32 s40, s6
	s_cbranch_execz .LBB6_980
; %bb.968:                              ;   in Loop: Header=BB6_939 Depth=3
	s_mov_b32 s60, exec_lo
	s_mov_b32 s41, exec_lo
	v_mbcnt_lo_u32_b32 v2, s60, 0
	global_wb scope:SCOPE_DEV
	s_wait_storecnt 0x0
	s_wait_loadcnt_dscnt 0x0
	global_inv scope:SCOPE_DEV
	v_cmpx_eq_u32_e32 0, v2
	s_cbranch_execz .LBB6_970
; %bb.969:                              ;   in Loop: Header=BB6_939 Depth=3
	s_bcnt1_i32_b32 s60, s60
	s_delay_alu instid0(SALU_CYCLE_1)
	v_mov_b32_e32 v2, s60
	s_wait_loadcnt 0x0
	ds_add_u64 v0, v[2:3]
	s_trap 2
.LBB6_970:                              ;   in Loop: Header=BB6_939 Depth=3
	s_or_b32 exec_lo, exec_lo, s41
	s_trap 2
	ds_load_b64 v[8:9], v0
	s_wait_dscnt 0x0
	v_add_nc_u64_e32 v[12:13], v[12:13], v[32:33]
	s_mov_b32 s41, exec_lo
	s_delay_alu instid0(VALU_DEP_1)
	v_cmpx_lt_u64_e64 v[8:9], v[12:13]
	s_cbranch_execz .LBB6_979
; %bb.971:                              ;   in Loop: Header=BB6_939 Depth=3
	s_mov_b32 s60, 0
	s_mov_b32 s63, 0
                                        ; implicit-def: $sgpr61
                                        ; implicit-def: $sgpr62
	s_branch .LBB6_973
.LBB6_972:                              ;   in Loop: Header=BB6_973 Depth=4
	s_or_b32 exec_lo, exec_lo, s73
	s_delay_alu instid0(SALU_CYCLE_1) | instskip(NEXT) | instid1(SALU_CYCLE_1)
	s_and_b32 s72, exec_lo, s74
	s_or_b32 s60, s72, s60
	s_and_not1_b32 s61, s61, exec_lo
	s_and_b32 s72, s62, exec_lo
	s_delay_alu instid0(SALU_CYCLE_1)
	s_or_b32 s61, s61, s72
	s_and_not1_b32 exec_lo, exec_lo, s60
	s_cbranch_execz .LBB6_977
.LBB6_973:                              ;   Parent Loop BB6_47 Depth=1
                                        ;     Parent Loop BB6_755 Depth=2
                                        ;       Parent Loop BB6_939 Depth=3
                                        ; =>      This Inner Loop Header: Depth=4
	s_add_co_i32 s63, s63, 1
	s_delay_alu instid0(SALU_CYCLE_1) | instskip(SKIP_1) | instid1(SALU_CYCLE_1)
	s_cmp_lg_u32 s63, 0x2710
	s_cselect_b32 s72, -1, 0
	s_and_b32 vcc_lo, exec_lo, s72
	s_cbranch_vccz .LBB6_975
; %bb.974:                              ;   in Loop: Header=BB6_973 Depth=4
	s_mov_b32 s74, -1
	s_or_b32 s62, s62, exec_lo
	s_and_saveexec_b32 s73, s72
	s_cbranch_execz .LBB6_972
	s_branch .LBB6_976
.LBB6_975:                              ;   in Loop: Header=BB6_973 Depth=4
	s_trap 2
	ds_load_b64 v[8:9], v0
	s_and_not1_b32 s72, s72, exec_lo
	s_mov_b32 s63, 0
	s_wait_loadcnt_dscnt 0x0
	flat_load_b32 v2, v[8:9] scope:SCOPE_SYS
	s_wait_loadcnt_dscnt 0x0
	global_inv scope:SCOPE_SYS
	v_cmp_eq_u32_e32 vcc_lo, 0, v2
	s_and_b32 s73, vcc_lo, exec_lo
	s_delay_alu instid0(SALU_CYCLE_1)
	s_or_b32 s72, s72, s73
	s_mov_b32 s74, -1
	s_or_b32 s62, s62, exec_lo
	s_and_saveexec_b32 s73, s72
	s_cbranch_execz .LBB6_972
.LBB6_976:                              ;   in Loop: Header=BB6_973 Depth=4
	s_sleep 1
	s_trap 2
	ds_load_b64 v[8:9], v0
	s_wait_dscnt 0x0
	s_and_not1_b32 s62, s62, exec_lo
	v_cmp_ge_u64_e32 vcc_lo, v[8:9], v[12:13]
	s_or_not1_b32 s74, vcc_lo, exec_lo
	s_branch .LBB6_972
.LBB6_977:                              ;   in Loop: Header=BB6_939 Depth=3
	s_or_b32 exec_lo, exec_lo, s60
	s_and_saveexec_b32 s60, s61
	s_delay_alu instid0(SALU_CYCLE_1)
	s_xor_b32 s60, exec_lo, s60
	s_cbranch_execz .LBB6_979
; %bb.978:                              ;   in Loop: Header=BB6_939 Depth=3
	ds_store_b32 v0, v59
	s_trap 2
.LBB6_979:                              ;   in Loop: Header=BB6_939 Depth=3
	s_or_b32 exec_lo, exec_lo, s41
	;;#ASMSTART
	s_wakeup
	;;#ASMEND
.LBB6_980:                              ;   in Loop: Header=BB6_939 Depth=3
	s_or_b32 exec_lo, exec_lo, s40
.LBB6_981:                              ;   in Loop: Header=BB6_939 Depth=3
	s_and_not1_saveexec_b32 s27, s27
	s_cbranch_execz .LBB6_983
; %bb.982:                              ;   in Loop: Header=BB6_939 Depth=3
	global_wb scope:SCOPE_DEV
	s_wait_storecnt 0x0
	s_wait_loadcnt_dscnt 0x0
	global_inv scope:SCOPE_DEV
	s_barrier_signal -1
	s_barrier_wait -1
.LBB6_983:                              ;   in Loop: Header=BB6_939 Depth=3
	s_or_b32 exec_lo, exec_lo, s27
.LBB6_984:                              ;   in Loop: Header=BB6_939 Depth=3
	s_delay_alu instid0(SALU_CYCLE_1) | instskip(SKIP_1) | instid1(SALU_CYCLE_1)
	s_or_b32 exec_lo, exec_lo, s13
                                        ; implicit-def: $vgpr2
	s_and_saveexec_b32 s13, s10
	s_xor_b32 s27, exec_lo, s13
	s_cbranch_execz .LBB6_988
; %bb.985:                              ;   in Loop: Header=BB6_939 Depth=3
	s_trap 2
	ds_load_b32 v2, v0
	v_cmp_lt_i32_e32 vcc_lo, 0, v102
	s_wait_dscnt 0x0
	v_readfirstlane_b32 s13, v2
	v_and_b32_e32 v2, 16, v30
	s_cmp_eq_u32 s13, 0
	s_delay_alu instid0(VALU_DEP_1) | instskip(SKIP_3) | instid1(SALU_CYCLE_1)
	v_cmp_ne_u32_e64 s13, 0, v2
	s_cselect_b32 s40, -1, 0
	v_and_b32_e32 v2, 16, v30
	s_and_b32 s40, vcc_lo, s40
	s_and_b32 s40, s13, s40
	s_delay_alu instid0(SALU_CYCLE_1)
	s_and_saveexec_b32 s13, s40
	s_cbranch_execz .LBB6_987
; %bb.986:                              ;   in Loop: Header=BB6_939 Depth=3
	v_mov_b32_e32 v2, 1
	global_wb scope:SCOPE_SYS
	s_wait_loadcnt 0x0
	s_wait_storecnt 0x0
	global_inv scope:SCOPE_SYS
.LBB6_987:                              ;   in Loop: Header=BB6_939 Depth=3
	s_or_b32 exec_lo, exec_lo, s13
	s_and_not1_saveexec_b32 s13, s27
	s_cbranch_execz .LBB6_1007
	s_branch .LBB6_989
.LBB6_988:                              ;   in Loop: Header=BB6_939 Depth=3
	s_and_not1_saveexec_b32 s13, s27
	s_cbranch_execz .LBB6_1007
.LBB6_989:                              ;   in Loop: Header=BB6_939 Depth=3
	s_and_saveexec_b32 s27, s3
	s_delay_alu instid0(SALU_CYCLE_1)
	s_xor_b32 s27, exec_lo, s27
	s_cbranch_execz .LBB6_1004
; %bb.990:                              ;   in Loop: Header=BB6_939 Depth=3
	s_and_saveexec_b32 s40, s6
	s_cbranch_execz .LBB6_1003
; %bb.991:                              ;   in Loop: Header=BB6_939 Depth=3
	s_mov_b32 s60, exec_lo
	s_mov_b32 s41, exec_lo
	v_mbcnt_lo_u32_b32 v2, s60, 0
	;;#ASMSTART
	s_waitcnt lgkmcnt(0) vmcnt(0)
	;;#ASMEND
	s_delay_alu instid0(VALU_DEP_1)
	v_cmpx_eq_u32_e32 0, v2
	s_cbranch_execz .LBB6_993
; %bb.992:                              ;   in Loop: Header=BB6_939 Depth=3
	s_bcnt1_i32_b32 s60, s60
	s_delay_alu instid0(SALU_CYCLE_1)
	v_mov_b32_e32 v2, s60
	s_wait_storecnt 0x0
	s_wait_loadcnt_dscnt 0x0
	ds_add_u64 v0, v[2:3]
	s_trap 2
.LBB6_993:                              ;   in Loop: Header=BB6_939 Depth=3
	s_or_b32 exec_lo, exec_lo, s41
	s_trap 2
	ds_load_b64 v[8:9], v0
	s_wait_dscnt 0x0
	v_add_nc_u64_e32 v[12:13], v[12:13], v[32:33]
	s_mov_b32 s41, exec_lo
	s_delay_alu instid0(VALU_DEP_1)
	v_cmpx_lt_u64_e64 v[8:9], v[12:13]
	s_cbranch_execz .LBB6_1002
; %bb.994:                              ;   in Loop: Header=BB6_939 Depth=3
	s_mov_b32 s60, 0
	s_mov_b32 s63, 0
                                        ; implicit-def: $sgpr61
                                        ; implicit-def: $sgpr62
	s_branch .LBB6_996
.LBB6_995:                              ;   in Loop: Header=BB6_996 Depth=4
	s_or_b32 exec_lo, exec_lo, s73
	s_delay_alu instid0(SALU_CYCLE_1) | instskip(NEXT) | instid1(SALU_CYCLE_1)
	s_and_b32 s72, exec_lo, s74
	s_or_b32 s60, s72, s60
	s_and_not1_b32 s61, s61, exec_lo
	s_and_b32 s72, s62, exec_lo
	s_delay_alu instid0(SALU_CYCLE_1)
	s_or_b32 s61, s61, s72
	s_and_not1_b32 exec_lo, exec_lo, s60
	s_cbranch_execz .LBB6_1000
.LBB6_996:                              ;   Parent Loop BB6_47 Depth=1
                                        ;     Parent Loop BB6_755 Depth=2
                                        ;       Parent Loop BB6_939 Depth=3
                                        ; =>      This Inner Loop Header: Depth=4
	s_add_co_i32 s63, s63, 1
	s_delay_alu instid0(SALU_CYCLE_1) | instskip(SKIP_1) | instid1(SALU_CYCLE_1)
	s_cmp_lg_u32 s63, 0x2710
	s_cselect_b32 s72, -1, 0
	s_and_b32 vcc_lo, exec_lo, s72
	s_cbranch_vccz .LBB6_998
; %bb.997:                              ;   in Loop: Header=BB6_996 Depth=4
	s_mov_b32 s74, -1
	s_or_b32 s62, s62, exec_lo
	s_and_saveexec_b32 s73, s72
	s_cbranch_execz .LBB6_995
	s_branch .LBB6_999
.LBB6_998:                              ;   in Loop: Header=BB6_996 Depth=4
	s_trap 2
	ds_load_b64 v[8:9], v0
	s_and_not1_b32 s72, s72, exec_lo
	s_mov_b32 s63, 0
	s_wait_storecnt 0x0
	s_wait_loadcnt_dscnt 0x0
	flat_load_b32 v2, v[8:9] scope:SCOPE_SYS
	s_wait_loadcnt_dscnt 0x0
	global_inv scope:SCOPE_SYS
	v_cmp_eq_u32_e32 vcc_lo, 0, v2
	s_and_b32 s73, vcc_lo, exec_lo
	s_delay_alu instid0(SALU_CYCLE_1)
	s_or_b32 s72, s72, s73
	s_mov_b32 s74, -1
	s_or_b32 s62, s62, exec_lo
	s_and_saveexec_b32 s73, s72
	s_cbranch_execz .LBB6_995
.LBB6_999:                              ;   in Loop: Header=BB6_996 Depth=4
	s_sleep 1
	s_trap 2
	ds_load_b64 v[8:9], v0
	s_wait_dscnt 0x0
	s_and_not1_b32 s62, s62, exec_lo
	v_cmp_ge_u64_e32 vcc_lo, v[8:9], v[12:13]
	s_or_not1_b32 s74, vcc_lo, exec_lo
	s_branch .LBB6_995
.LBB6_1000:                             ;   in Loop: Header=BB6_939 Depth=3
	s_or_b32 exec_lo, exec_lo, s60
	s_and_saveexec_b32 s60, s61
	s_delay_alu instid0(SALU_CYCLE_1)
	s_xor_b32 s60, exec_lo, s60
	s_cbranch_execz .LBB6_1002
; %bb.1001:                             ;   in Loop: Header=BB6_939 Depth=3
	ds_store_b32 v0, v59
	s_trap 2
.LBB6_1002:                             ;   in Loop: Header=BB6_939 Depth=3
	s_or_b32 exec_lo, exec_lo, s41
	;;#ASMSTART
	s_wakeup
	;;#ASMEND
.LBB6_1003:                             ;   in Loop: Header=BB6_939 Depth=3
	s_or_b32 exec_lo, exec_lo, s40
.LBB6_1004:                             ;   in Loop: Header=BB6_939 Depth=3
	s_and_not1_saveexec_b32 s27, s27
	s_cbranch_execz .LBB6_1006
; %bb.1005:                             ;   in Loop: Header=BB6_939 Depth=3
	;;#ASMSTART
	s_waitcnt lgkmcnt(0) vmcnt(0)
	;;#ASMEND
	s_barrier_signal -1
	s_barrier_wait -1
.LBB6_1006:                             ;   in Loop: Header=BB6_939 Depth=3
	s_or_b32 exec_lo, exec_lo, s27
	v_and_b32_e32 v2, 16, v30
.LBB6_1007:                             ;   in Loop: Header=BB6_939 Depth=3
	s_or_b32 exec_lo, exec_lo, s13
	s_delay_alu instid0(VALU_DEP_1) | instskip(SKIP_1) | instid1(SALU_CYCLE_1)
	v_cmp_ne_u32_e32 vcc_lo, 0, v2
	s_xor_b32 s13, s4, -1
	s_and_b32 s27, vcc_lo, s13
	s_delay_alu instid0(SALU_CYCLE_1)
	s_and_saveexec_b32 s13, s27
	s_cbranch_execz .LBB6_1009
; %bb.1008:                             ;   in Loop: Header=BB6_939 Depth=3
	global_wb scope:SCOPE_SYS
	s_wait_storecnt 0x0
	s_wait_loadcnt_dscnt 0x0
	flat_store_b32 v[26:27], v59 scope:SCOPE_SYS
.LBB6_1009:                             ;   in Loop: Header=BB6_939 Depth=3
	s_wait_xcnt 0x0
	s_or_b32 exec_lo, exec_lo, s13
	v_and_b32_e32 v2, 48, v30
	s_mov_b32 s13, exec_lo
	s_delay_alu instid0(VALU_DEP_1)
	v_cmpx_ne_u32_e32 0, v2
	s_cbranch_execz .LBB6_938
; %bb.1010:                             ;   in Loop: Header=BB6_939 Depth=3
	v_add_nc_u64_e32 v[96:97], 2, v[96:97]
	global_wb scope:SCOPE_SYS
	s_wait_storecnt 0x0
	s_wait_loadcnt_dscnt 0x0
	flat_store_b64 v[20:21], v[96:97] scope:SCOPE_SYS
	s_branch .LBB6_938
.LBB6_1011:                             ;   in Loop: Header=BB6_755 Depth=2
	s_or_b32 exec_lo, exec_lo, s15
.LBB6_1012:                             ;   in Loop: Header=BB6_755 Depth=2
	s_delay_alu instid0(SALU_CYCLE_1)
	s_or_b32 exec_lo, exec_lo, s14
	s_add_co_i32 s13, s18, 1
	s_cmp_eq_u32 s18, s56
	s_cbranch_scc1 .LBB6_1014
; %bb.1013:                             ;   in Loop: Header=BB6_755 Depth=2
	s_mov_b32 s18, s13
	s_branch .LBB6_755
.LBB6_1014:                             ;   in Loop: Header=BB6_47 Depth=1
	v_mul_u64_e32 v[10:11], s[28:29], v[86:87]
	s_delay_alu instid0(VALU_DEP_1) | instskip(NEXT) | instid1(VALU_DEP_1)
	v_sub_nc_u64_e32 v[8:9], v[98:99], v[10:11]
	v_min_i64 v[8:9], v[86:87], v[8:9]
	s_delay_alu instid0(VALU_DEP_1) | instskip(SKIP_1) | instid1(VALU_DEP_2)
	v_max_i32_e32 v116, 0, v8
	v_cmp_lt_i32_e32 vcc_lo, 0, v8
	v_dual_mov_b32 v8, 0 :: v_dual_add_nc_u32 v2, 31, v116
	s_and_b32 s13, s57, vcc_lo
	s_delay_alu instid0(VALU_DEP_1) | instskip(NEXT) | instid1(VALU_DEP_1)
	v_lshrrev_b32_e32 v2, 1, v2
	v_and_b32_e32 v9, 0x3ffffff0, v2
	s_delay_alu instid0(VALU_DEP_1)
	v_dual_mov_b32 v2, 0 :: v_dual_max_i32 v117, s45, v9
	s_and_saveexec_b32 s14, s13
	s_cbranch_execz .LBB6_1154
; %bb.1015:                             ;   in Loop: Header=BB6_47 Depth=1
	v_add_nc_u64_e32 v[8:9], v[10:11], v[100:101]
	s_mov_b32 s27, 1
	s_mov_b32 s18, -1
	s_mov_b32 s15, 0
	s_delay_alu instid0(VALU_DEP_1)
	v_lshlrev_b64_e32 v[10:11], 2, v[8:9]
	v_mov_b32_e32 v8, 0
	s_branch .LBB6_1017
.LBB6_1016:                             ;   in Loop: Header=BB6_1017 Depth=2
	s_wait_xcnt 0x0
	s_or_b32 exec_lo, exec_lo, s13
	v_dual_add_nc_u32 v8, v117, v8 :: v_dual_mov_b32 v2, s27
	s_xor_b32 s13, s18, -1
	s_mov_b32 s18, 0
	s_mov_b32 s27, 2
	s_delay_alu instid0(VALU_DEP_1) | instskip(SKIP_1) | instid1(SALU_CYCLE_1)
	v_cmp_ge_i32_e32 vcc_lo, v8, v116
	s_or_b32 s13, s13, vcc_lo
	s_and_b32 s13, exec_lo, s13
	s_delay_alu instid0(SALU_CYCLE_1) | instskip(NEXT) | instid1(SALU_CYCLE_1)
	s_or_b32 s15, s13, s15
	s_and_not1_b32 exec_lo, exec_lo, s15
	s_cbranch_execz .LBB6_1153
.LBB6_1017:                             ;   Parent Loop BB6_47 Depth=1
                                        ; =>  This Loop Header: Depth=2
                                        ;       Child Loop BB6_1025 Depth 3
                                        ;       Child Loop BB6_1049 Depth 3
                                        ;       Child Loop BB6_1068 Depth 3
                                        ;       Child Loop BB6_1094 Depth 3
                                        ;       Child Loop BB6_1099 Depth 3
                                        ;       Child Loop BB6_1107 Depth 3
                                        ;       Child Loop BB6_1112 Depth 3
                                        ;       Child Loop BB6_1121 Depth 3
                                        ;       Child Loop BB6_1140 Depth 3
	s_and_saveexec_b32 s13, s0
	s_cbranch_execz .LBB6_1019
; %bb.1018:                             ;   in Loop: Header=BB6_1017 Depth=2
	s_trap 2
	ds_load_b128 v[16:19], v0
	s_wait_dscnt 0x0
	v_cmp_ne_u64_e32 vcc_lo, 0, v[18:19]
	v_ashrrev_i32_e32 v9, 31, v8
	v_add_nc_u64_e32 v[38:39], v[18:19], v[10:11]
	v_add_nc_u64_e32 v[16:17], v[16:17], v[10:11]
	s_delay_alu instid0(VALU_DEP_3) | instskip(NEXT) | instid1(VALU_DEP_1)
	v_lshlrev_b64_e32 v[36:37], 2, v[8:9]
	v_add_nc_u64_e32 v[38:39], v[38:39], v[36:37]
	s_delay_alu instid0(VALU_DEP_3) | instskip(NEXT) | instid1(VALU_DEP_2)
	v_add_nc_u64_e32 v[16:17], v[16:17], v[36:37]
	v_dual_cndmask_b32 v19, 0, v39 :: v_dual_cndmask_b32 v18, 0, v38
	ds_store_b64 v0, v[16:17]
	ds_store_b64 v0, v[18:19]
.LBB6_1019:                             ;   in Loop: Header=BB6_1017 Depth=2
	s_or_b32 exec_lo, exec_lo, s13
	v_and_b32_e32 v2, 4, v30
	s_mov_b32 s40, exec_lo
	s_delay_alu instid0(VALU_DEP_1)
	v_cmpx_ne_u32_e32 0, v2
	s_cbranch_execz .LBB6_1041
; %bb.1020:                             ;   in Loop: Header=BB6_1017 Depth=2
	v_add_nc_u64_e32 v[98:99], 2, v[96:97]
	s_mov_b32 s41, exec_lo
	s_wait_loadcnt_dscnt 0x1
	s_delay_alu instid0(VALU_DEP_1)
	v_cmpx_lt_u64_e64 v[28:29], v[98:99]
	s_cbranch_execz .LBB6_1032
; %bb.1021:                             ;   in Loop: Header=BB6_1017 Depth=2
	v_and_b32_e32 v2, 64, v30
	s_mov_b32 s60, 0
	s_mov_b32 s72, 0
                                        ; implicit-def: $sgpr61
                                        ; implicit-def: $sgpr62
                                        ; implicit-def: $sgpr63
	s_delay_alu instid0(VALU_DEP_1)
	v_cmp_eq_u32_e32 vcc_lo, 0, v2
	s_branch .LBB6_1025
.LBB6_1022:                             ;   in Loop: Header=BB6_1025 Depth=3
	s_wait_loadcnt_dscnt 0x0
	v_cmp_ge_u64_e64 s13, v[28:29], v[98:99]
	s_or_b32 s75, s75, exec_lo
	s_or_not1_b32 s74, s13, exec_lo
.LBB6_1023:                             ;   in Loop: Header=BB6_1025 Depth=3
	s_or_b32 exec_lo, exec_lo, s77
	s_delay_alu instid0(SALU_CYCLE_1)
	s_and_not1_b32 s13, s63, exec_lo
	s_and_b32 s63, s75, exec_lo
	s_and_not1_b32 s62, s62, exec_lo
	s_and_b32 s74, s74, exec_lo
	s_or_b32 s63, s13, s63
	s_or_b32 s62, s62, s74
.LBB6_1024:                             ;   in Loop: Header=BB6_1025 Depth=3
	s_or_b32 exec_lo, exec_lo, s73
	s_delay_alu instid0(SALU_CYCLE_1) | instskip(NEXT) | instid1(SALU_CYCLE_1)
	s_and_b32 s13, exec_lo, s62
	s_or_b32 s60, s13, s60
	s_and_not1_b32 s13, s61, exec_lo
	s_and_b32 s61, s63, exec_lo
	s_delay_alu instid0(SALU_CYCLE_1)
	s_or_b32 s61, s13, s61
	s_and_not1_b32 exec_lo, exec_lo, s60
	s_cbranch_execz .LBB6_1029
.LBB6_1025:                             ;   Parent Loop BB6_47 Depth=1
                                        ;     Parent Loop BB6_1017 Depth=2
                                        ; =>    This Inner Loop Header: Depth=3
	s_sleep 1
	s_wait_loadcnt_dscnt 0x0
	flat_load_b64 v[28:29], v[20:21] scope:SCOPE_SYS
	s_or_b32 s63, s63, exec_lo
	s_or_b32 s62, s62, exec_lo
                                        ; implicit-def: $vgpr2
	s_wait_xcnt 0x0
	s_and_saveexec_b32 s73, vcc_lo
	s_cbranch_execz .LBB6_1024
; %bb.1026:                             ;   in Loop: Header=BB6_1025 Depth=3
	s_cmp_lt_i32 s72, 0x270f
	s_mov_b32 s74, -1
	s_cselect_b32 s76, -1, 0
	s_cmp_gt_i32 s72, 0x270e
	s_cbranch_scc0 .LBB6_1028
; %bb.1027:                             ;   in Loop: Header=BB6_1025 Depth=3
	s_trap 2
	ds_load_b64 v[16:17], v0
	s_and_not1_b32 s72, s76, exec_lo
	s_mov_b32 s75, 0
	s_wait_storecnt 0x0
	s_wait_loadcnt_dscnt 0x0
	flat_load_b32 v2, v[16:17] scope:SCOPE_SYS
	s_wait_loadcnt_dscnt 0x0
	global_inv scope:SCOPE_SYS
	v_cmp_eq_u32_e64 s13, 0, v2
	s_and_b32 s13, s13, exec_lo
	s_delay_alu instid0(SALU_CYCLE_1)
	s_or_b32 s76, s72, s13
	s_mov_b32 s72, 0
	s_and_saveexec_b32 s77, s76
	s_cbranch_execz .LBB6_1023
	s_branch .LBB6_1022
.LBB6_1028:                             ;   in Loop: Header=BB6_1025 Depth=3
	s_add_co_i32 s72, s72, 1
	s_mov_b32 s75, -1
                                        ; implicit-def: $vgpr2
	s_and_saveexec_b32 s77, s76
	s_cbranch_execz .LBB6_1023
	s_branch .LBB6_1022
.LBB6_1029:                             ;   in Loop: Header=BB6_1017 Depth=2
	s_or_b32 exec_lo, exec_lo, s60
	s_xor_b32 s13, s61, -1
	s_delay_alu instid0(SALU_CYCLE_1) | instskip(NEXT) | instid1(SALU_CYCLE_1)
	s_and_saveexec_b32 s60, s13
	s_xor_b32 s13, exec_lo, s60
	s_cbranch_execz .LBB6_1031
; %bb.1030:                             ;   in Loop: Header=BB6_1017 Depth=2
	v_or_b32_e32 v30, 64, v30
	s_wait_storecnt 0x0
	s_wait_loadcnt_dscnt 0x0
	ds_store_b32 v0, v2
	s_trap 2
.LBB6_1031:                             ;   in Loop: Header=BB6_1017 Depth=2
	s_or_b32 exec_lo, exec_lo, s13
.LBB6_1032:                             ;   in Loop: Header=BB6_1017 Depth=2
	s_delay_alu instid0(SALU_CYCLE_1) | instskip(SKIP_3) | instid1(VALU_DEP_1)
	s_or_b32 exec_lo, exec_lo, s41
	v_and_b32_e32 v2, 0x100, v30
	s_mov_b32 s13, -1
	;;#ASMSTART
	s_wakeup
	;;#ASMEND
	v_cmp_ne_u32_e32 vcc_lo, 0, v2
	v_and_b32_e32 v2, 7, v96
                                        ; implicit-def: $vgpr96_vgpr97
	s_and_saveexec_b32 s41, vcc_lo
	s_cbranch_execz .LBB6_1036
; %bb.1033:                             ;   in Loop: Header=BB6_1017 Depth=2
	s_delay_alu instid0(VALU_DEP_1)
	v_mad_nc_u64_u32 v[100:101], v2, 24, v[6:7]
	s_mov_b32 s60, exec_lo
                                        ; implicit-def: $vgpr96_vgpr97
	flat_load_b32 v9, v[100:101]
	s_wait_loadcnt_dscnt 0x0
	v_cmp_ne_u32_e32 vcc_lo, 1, v9
	s_wait_xcnt 0x0
	v_cmpx_eq_u32_e32 1, v9
	s_cbranch_execz .LBB6_1035
; %bb.1034:                             ;   in Loop: Header=BB6_1017 Depth=2
	flat_load_b32 v16, v[100:101] offset:4 scope:SCOPE_SYS
	s_wait_loadcnt_dscnt 0x0
	v_ashrrev_i32_e32 v17, 31, v16
	s_delay_alu instid0(VALU_DEP_1)
	v_lshrrev_b64 v[96:97], 2, v[16:17]
.LBB6_1035:                             ;   in Loop: Header=BB6_1017 Depth=2
	s_wait_xcnt 0x0
	s_or_b32 exec_lo, exec_lo, s60
	s_delay_alu instid0(SALU_CYCLE_1)
	s_or_not1_b32 s13, vcc_lo, exec_lo
.LBB6_1036:                             ;   in Loop: Header=BB6_1017 Depth=2
	s_or_b32 exec_lo, exec_lo, s41
	s_and_saveexec_b32 s41, s13
; %bb.1037:                             ;   in Loop: Header=BB6_1017 Depth=2
	v_mul_u64_e32 v[96:97], v[2:3], v[22:23]
; %bb.1038:                             ;   in Loop: Header=BB6_1017 Depth=2
	s_or_b32 exec_lo, exec_lo, s41
	v_and_b32_e32 v2, 0x2000, v30
	s_delay_alu instid0(VALU_DEP_2)
	v_lshl_add_u64 v[16:17], v[96:97], 2, v[24:25]
	s_mov_b32 s13, exec_lo
	ds_store_b64 v0, v[16:17] offset:720
	v_cmpx_ne_u32_e32 0, v2
	s_cbranch_execz .LBB6_1040
; %bb.1039:                             ;   in Loop: Header=BB6_1017 Depth=2
	ds_load_b64 v[16:17], v0 offset:872
	s_wait_dscnt 0x0
	v_add_nc_u64_e32 v[16:17], 1, v[16:17]
	ds_store_b64 v0, v[16:17] offset:872
.LBB6_1040:                             ;   in Loop: Header=BB6_1017 Depth=2
	s_or_b32 exec_lo, exec_lo, s13
	v_mov_b64_e32 v[96:97], v[98:99]
.LBB6_1041:                             ;   in Loop: Header=BB6_1017 Depth=2
	s_or_b32 exec_lo, exec_lo, s40
	s_and_saveexec_b32 s13, s2
	s_cbranch_execz .LBB6_1060
; %bb.1042:                             ;   in Loop: Header=BB6_1017 Depth=2
	s_and_saveexec_b32 s40, s3
	s_delay_alu instid0(SALU_CYCLE_1)
	s_xor_b32 s40, exec_lo, s40
	s_cbranch_execz .LBB6_1057
; %bb.1043:                             ;   in Loop: Header=BB6_1017 Depth=2
	s_and_saveexec_b32 s41, s6
	s_cbranch_execz .LBB6_1056
; %bb.1044:                             ;   in Loop: Header=BB6_1017 Depth=2
	s_mov_b32 s61, exec_lo
	s_mov_b32 s60, exec_lo
	v_mbcnt_lo_u32_b32 v2, s61, 0
	global_wb scope:SCOPE_DEV
	s_wait_storecnt 0x0
	s_wait_loadcnt_dscnt 0x0
	global_inv scope:SCOPE_DEV
	v_cmpx_eq_u32_e32 0, v2
	s_cbranch_execz .LBB6_1046
; %bb.1045:                             ;   in Loop: Header=BB6_1017 Depth=2
	s_bcnt1_i32_b32 s61, s61
	s_delay_alu instid0(SALU_CYCLE_1)
	v_mov_b32_e32 v2, s61
	s_wait_loadcnt 0x0
	ds_add_u64 v0, v[2:3]
	s_trap 2
.LBB6_1046:                             ;   in Loop: Header=BB6_1017 Depth=2
	s_or_b32 exec_lo, exec_lo, s60
	s_trap 2
	ds_load_b64 v[16:17], v0
	s_wait_dscnt 0x0
	v_add_nc_u64_e32 v[12:13], v[12:13], v[32:33]
	s_mov_b32 s60, exec_lo
	s_delay_alu instid0(VALU_DEP_1)
	v_cmpx_lt_u64_e64 v[16:17], v[12:13]
	s_cbranch_execz .LBB6_1055
; %bb.1047:                             ;   in Loop: Header=BB6_1017 Depth=2
	s_mov_b32 s61, 0
	s_mov_b32 s72, 0
                                        ; implicit-def: $sgpr62
                                        ; implicit-def: $sgpr63
	s_branch .LBB6_1049
.LBB6_1048:                             ;   in Loop: Header=BB6_1049 Depth=3
	s_or_b32 exec_lo, exec_lo, s74
	s_delay_alu instid0(SALU_CYCLE_1) | instskip(NEXT) | instid1(SALU_CYCLE_1)
	s_and_b32 s73, exec_lo, s75
	s_or_b32 s61, s73, s61
	s_and_not1_b32 s62, s62, exec_lo
	s_and_b32 s73, s63, exec_lo
	s_delay_alu instid0(SALU_CYCLE_1)
	s_or_b32 s62, s62, s73
	s_and_not1_b32 exec_lo, exec_lo, s61
	s_cbranch_execz .LBB6_1053
.LBB6_1049:                             ;   Parent Loop BB6_47 Depth=1
                                        ;     Parent Loop BB6_1017 Depth=2
                                        ; =>    This Inner Loop Header: Depth=3
	s_add_co_i32 s72, s72, 1
	s_delay_alu instid0(SALU_CYCLE_1) | instskip(SKIP_1) | instid1(SALU_CYCLE_1)
	s_cmp_lg_u32 s72, 0x2710
	s_cselect_b32 s73, -1, 0
	s_and_b32 vcc_lo, exec_lo, s73
	s_cbranch_vccz .LBB6_1051
; %bb.1050:                             ;   in Loop: Header=BB6_1049 Depth=3
	s_mov_b32 s75, -1
	s_or_b32 s63, s63, exec_lo
	s_and_saveexec_b32 s74, s73
	s_cbranch_execz .LBB6_1048
	s_branch .LBB6_1052
.LBB6_1051:                             ;   in Loop: Header=BB6_1049 Depth=3
	s_trap 2
	ds_load_b64 v[16:17], v0
	s_and_not1_b32 s73, s73, exec_lo
	s_mov_b32 s72, 0
	s_wait_loadcnt_dscnt 0x0
	flat_load_b32 v2, v[16:17] scope:SCOPE_SYS
	s_wait_loadcnt_dscnt 0x0
	global_inv scope:SCOPE_SYS
	v_cmp_eq_u32_e32 vcc_lo, 0, v2
	s_and_b32 s74, vcc_lo, exec_lo
	s_delay_alu instid0(SALU_CYCLE_1)
	s_or_b32 s73, s73, s74
	s_mov_b32 s75, -1
	s_or_b32 s63, s63, exec_lo
	s_and_saveexec_b32 s74, s73
	s_cbranch_execz .LBB6_1048
.LBB6_1052:                             ;   in Loop: Header=BB6_1049 Depth=3
	s_sleep 1
	s_trap 2
	ds_load_b64 v[16:17], v0
	s_wait_dscnt 0x0
	s_and_not1_b32 s63, s63, exec_lo
	v_cmp_ge_u64_e32 vcc_lo, v[16:17], v[12:13]
	s_or_not1_b32 s75, vcc_lo, exec_lo
	s_branch .LBB6_1048
.LBB6_1053:                             ;   in Loop: Header=BB6_1017 Depth=2
	s_or_b32 exec_lo, exec_lo, s61
	s_and_saveexec_b32 s61, s62
	s_delay_alu instid0(SALU_CYCLE_1)
	s_xor_b32 s61, exec_lo, s61
	s_cbranch_execz .LBB6_1055
; %bb.1054:                             ;   in Loop: Header=BB6_1017 Depth=2
	ds_store_b32 v0, v59
	s_trap 2
.LBB6_1055:                             ;   in Loop: Header=BB6_1017 Depth=2
	s_or_b32 exec_lo, exec_lo, s60
	;;#ASMSTART
	s_wakeup
	;;#ASMEND
.LBB6_1056:                             ;   in Loop: Header=BB6_1017 Depth=2
	s_or_b32 exec_lo, exec_lo, s41
.LBB6_1057:                             ;   in Loop: Header=BB6_1017 Depth=2
	s_and_not1_saveexec_b32 s40, s40
	s_cbranch_execz .LBB6_1059
; %bb.1058:                             ;   in Loop: Header=BB6_1017 Depth=2
	global_wb scope:SCOPE_DEV
	s_wait_storecnt 0x0
	s_wait_loadcnt_dscnt 0x0
	global_inv scope:SCOPE_DEV
	s_barrier_signal -1
	s_barrier_wait -1
.LBB6_1059:                             ;   in Loop: Header=BB6_1017 Depth=2
	s_or_b32 exec_lo, exec_lo, s40
.LBB6_1060:                             ;   in Loop: Header=BB6_1017 Depth=2
	s_delay_alu instid0(SALU_CYCLE_1) | instskip(SKIP_4) | instid1(VALU_DEP_1)
	s_or_b32 exec_lo, exec_lo, s13
	s_trap 2
	ds_load_b32 v9, v0
	v_and_b32_e32 v2, 0x4000, v30
	s_xor_b32 s13, s1, -1
	v_cmp_ne_u32_e32 vcc_lo, 0, v2
	s_and_b32 s40, s13, vcc_lo
	s_delay_alu instid0(SALU_CYCLE_1)
	s_and_saveexec_b32 s13, s40
	s_cbranch_execz .LBB6_1079
; %bb.1061:                             ;   in Loop: Header=BB6_1017 Depth=2
	s_and_saveexec_b32 s40, s3
	s_delay_alu instid0(SALU_CYCLE_1)
	s_xor_b32 s40, exec_lo, s40
	s_cbranch_execz .LBB6_1076
; %bb.1062:                             ;   in Loop: Header=BB6_1017 Depth=2
	s_and_saveexec_b32 s41, s6
	s_cbranch_execz .LBB6_1075
; %bb.1063:                             ;   in Loop: Header=BB6_1017 Depth=2
	s_mov_b32 s61, exec_lo
	s_mov_b32 s60, exec_lo
	v_mbcnt_lo_u32_b32 v2, s61, 0
	global_wb scope:SCOPE_DEV
	s_wait_storecnt 0x0
	s_wait_loadcnt_dscnt 0x0
	global_inv scope:SCOPE_DEV
	v_cmpx_eq_u32_e32 0, v2
	s_cbranch_execz .LBB6_1065
; %bb.1064:                             ;   in Loop: Header=BB6_1017 Depth=2
	s_bcnt1_i32_b32 s61, s61
	s_delay_alu instid0(SALU_CYCLE_1)
	v_mov_b32_e32 v2, s61
	s_wait_loadcnt 0x0
	ds_add_u64 v0, v[2:3]
	s_trap 2
.LBB6_1065:                             ;   in Loop: Header=BB6_1017 Depth=2
	s_or_b32 exec_lo, exec_lo, s60
	s_trap 2
	ds_load_b64 v[16:17], v0
	s_wait_dscnt 0x0
	v_add_nc_u64_e32 v[12:13], v[12:13], v[32:33]
	s_mov_b32 s60, exec_lo
	s_delay_alu instid0(VALU_DEP_1)
	v_cmpx_lt_u64_e64 v[16:17], v[12:13]
	s_cbranch_execz .LBB6_1074
; %bb.1066:                             ;   in Loop: Header=BB6_1017 Depth=2
	s_mov_b32 s61, 0
	s_mov_b32 s72, 0
                                        ; implicit-def: $sgpr62
                                        ; implicit-def: $sgpr63
	s_branch .LBB6_1068
.LBB6_1067:                             ;   in Loop: Header=BB6_1068 Depth=3
	s_or_b32 exec_lo, exec_lo, s74
	s_delay_alu instid0(SALU_CYCLE_1) | instskip(NEXT) | instid1(SALU_CYCLE_1)
	s_and_b32 s73, exec_lo, s75
	s_or_b32 s61, s73, s61
	s_and_not1_b32 s62, s62, exec_lo
	s_and_b32 s73, s63, exec_lo
	s_delay_alu instid0(SALU_CYCLE_1)
	s_or_b32 s62, s62, s73
	s_and_not1_b32 exec_lo, exec_lo, s61
	s_cbranch_execz .LBB6_1072
.LBB6_1068:                             ;   Parent Loop BB6_47 Depth=1
                                        ;     Parent Loop BB6_1017 Depth=2
                                        ; =>    This Inner Loop Header: Depth=3
	s_add_co_i32 s72, s72, 1
	s_delay_alu instid0(SALU_CYCLE_1) | instskip(SKIP_1) | instid1(SALU_CYCLE_1)
	s_cmp_lg_u32 s72, 0x2710
	s_cselect_b32 s73, -1, 0
	s_and_b32 vcc_lo, exec_lo, s73
	s_cbranch_vccz .LBB6_1070
; %bb.1069:                             ;   in Loop: Header=BB6_1068 Depth=3
	s_mov_b32 s75, -1
	s_or_b32 s63, s63, exec_lo
	s_and_saveexec_b32 s74, s73
	s_cbranch_execz .LBB6_1067
	s_branch .LBB6_1071
.LBB6_1070:                             ;   in Loop: Header=BB6_1068 Depth=3
	s_trap 2
	ds_load_b64 v[16:17], v0
	s_and_not1_b32 s73, s73, exec_lo
	s_mov_b32 s72, 0
	s_wait_loadcnt_dscnt 0x0
	flat_load_b32 v2, v[16:17] scope:SCOPE_SYS
	s_wait_loadcnt_dscnt 0x0
	global_inv scope:SCOPE_SYS
	v_cmp_eq_u32_e32 vcc_lo, 0, v2
	s_and_b32 s74, vcc_lo, exec_lo
	s_delay_alu instid0(SALU_CYCLE_1)
	s_or_b32 s73, s73, s74
	s_mov_b32 s75, -1
	s_or_b32 s63, s63, exec_lo
	s_and_saveexec_b32 s74, s73
	s_cbranch_execz .LBB6_1067
.LBB6_1071:                             ;   in Loop: Header=BB6_1068 Depth=3
	s_sleep 1
	s_trap 2
	ds_load_b64 v[16:17], v0
	s_wait_dscnt 0x0
	s_and_not1_b32 s63, s63, exec_lo
	v_cmp_ge_u64_e32 vcc_lo, v[16:17], v[12:13]
	s_or_not1_b32 s75, vcc_lo, exec_lo
	s_branch .LBB6_1067
.LBB6_1072:                             ;   in Loop: Header=BB6_1017 Depth=2
	s_or_b32 exec_lo, exec_lo, s61
	s_and_saveexec_b32 s61, s62
	s_delay_alu instid0(SALU_CYCLE_1)
	s_xor_b32 s61, exec_lo, s61
	s_cbranch_execz .LBB6_1074
; %bb.1073:                             ;   in Loop: Header=BB6_1017 Depth=2
	ds_store_b32 v0, v59
	s_trap 2
.LBB6_1074:                             ;   in Loop: Header=BB6_1017 Depth=2
	s_or_b32 exec_lo, exec_lo, s60
	;;#ASMSTART
	s_wakeup
	;;#ASMEND
.LBB6_1075:                             ;   in Loop: Header=BB6_1017 Depth=2
	s_or_b32 exec_lo, exec_lo, s41
.LBB6_1076:                             ;   in Loop: Header=BB6_1017 Depth=2
	s_and_not1_saveexec_b32 s40, s40
	s_cbranch_execz .LBB6_1078
; %bb.1077:                             ;   in Loop: Header=BB6_1017 Depth=2
	global_wb scope:SCOPE_DEV
	s_wait_storecnt 0x0
	s_wait_loadcnt_dscnt 0x0
	global_inv scope:SCOPE_DEV
	s_barrier_signal -1
	s_barrier_wait -1
.LBB6_1078:                             ;   in Loop: Header=BB6_1017 Depth=2
	s_or_b32 exec_lo, exec_lo, s40
.LBB6_1079:                             ;   in Loop: Header=BB6_1017 Depth=2
	s_delay_alu instid0(SALU_CYCLE_1) | instskip(SKIP_3) | instid1(VALU_DEP_1)
	s_or_b32 exec_lo, exec_lo, s13
	s_trap 2
	ds_load_b64 v[98:99], v0
	v_sub_nc_u32_e32 v2, v116, v8
	v_min_i32_e32 v117, v117, v2
	s_wait_dscnt 0x0
	v_cmp_eq_u64_e32 vcc_lo, 0, v[98:99]
	s_cbranch_vccnz .LBB6_1087
; %bb.1080:                             ;   in Loop: Header=BB6_1017 Depth=2
	s_trap 2
	ds_load_b64 v[100:101], v0
	s_wait_dscnt 0x0
	v_cmp_eq_u64_e32 vcc_lo, 0, v[100:101]
	s_cbranch_vccnz .LBB6_1087
; %bb.1081:                             ;   in Loop: Header=BB6_1017 Depth=2
	s_mov_b32 s13, -1
	s_and_saveexec_b32 s40, s11
	s_cbranch_execz .LBB6_1083
; %bb.1082:                             ;   in Loop: Header=BB6_1017 Depth=2
	ds_load_b32 v2, v0 offset:720
	s_wait_dscnt 0x0
	v_and_b32_e32 v2, 15, v2
	s_delay_alu instid0(VALU_DEP_1)
	v_cmp_eq_u32_e32 vcc_lo, 0, v2
	s_or_not1_b32 s13, vcc_lo, exec_lo
.LBB6_1083:                             ;   in Loop: Header=BB6_1017 Depth=2
	s_or_b32 exec_lo, exec_lo, s40
	s_and_saveexec_b32 s40, s7
	s_cbranch_execz .LBB6_1085
; %bb.1084:                             ;   in Loop: Header=BB6_1017 Depth=2
	ds_load_b32 v2, v0 offset:784
	s_wait_dscnt 0x0
	v_and_b32_e32 v2, 15, v2
	s_delay_alu instid0(VALU_DEP_1) | instskip(SKIP_3) | instid1(SALU_CYCLE_1)
	v_cmp_eq_u32_e32 vcc_lo, 0, v2
	s_and_b32 s41, s13, vcc_lo
	s_and_not1_b32 s13, s13, exec_lo
	s_and_b32 s41, s41, exec_lo
	s_or_b32 s13, s13, s41
.LBB6_1085:                             ;   in Loop: Header=BB6_1017 Depth=2
	s_or_b32 exec_lo, exec_lo, s40
	v_cmp_eq_u32_e32 vcc_lo, 0, v9
	s_xor_b32 s13, s13, -1
	s_mov_b32 s41, -1
	v_cndmask_b32_e64 v16, 0, 1, s13
	v_dual_mov_b32 v118, 0 :: v_dual_cndmask_b32 v2, 0, v117, vcc_lo
	s_delay_alu instid0(VALU_DEP_2) | instskip(NEXT) | instid1(VALU_DEP_2)
	v_cmp_ne_u32_e32 vcc_lo, 0, v16
	v_lshlrev_b32_e32 v9, 2, v2
	s_cbranch_vccz .LBB6_1092
; %bb.1086:                             ;   in Loop: Header=BB6_1017 Depth=2
	v_dual_mov_b32 v119, v0 :: v_dual_mov_b32 v102, v62
	s_and_saveexec_b32 s13, s41
	s_cbranch_execnz .LBB6_1105
	s_branch .LBB6_1113
.LBB6_1087:                             ;   in Loop: Header=BB6_1017 Depth=2
	s_mov_b32 s13, 0
	s_and_saveexec_b32 s40, s2
	s_cbranch_execnz .LBB6_1114
.LBB6_1088:                             ;   in Loop: Header=BB6_1017 Depth=2
	s_or_b32 exec_lo, exec_lo, s40
	s_and_saveexec_b32 s40, s10
	s_delay_alu instid0(SALU_CYCLE_1)
	s_xor_b32 s40, exec_lo, s40
	s_cbranch_execz .LBB6_1132
.LBB6_1089:                             ;   in Loop: Header=BB6_1017 Depth=2
	v_and_b32_e32 v2, 16, v30
	s_delay_alu instid0(VALU_DEP_1) | instskip(SKIP_1) | instid1(SALU_CYCLE_1)
	v_cmp_ne_u32_e32 vcc_lo, 0, v2
	s_and_b32 s41, vcc_lo, s13
	s_and_saveexec_b32 s13, s41
	s_cbranch_execz .LBB6_1091
; %bb.1090:                             ;   in Loop: Header=BB6_1017 Depth=2
	global_wb scope:SCOPE_SYS
	s_wait_storecnt 0x0
	s_wait_loadcnt_dscnt 0x0
	global_inv scope:SCOPE_SYS
.LBB6_1091:                             ;   in Loop: Header=BB6_1017 Depth=2
	s_or_b32 exec_lo, exec_lo, s13
	s_and_not1_saveexec_b32 s13, s40
	s_cbranch_execz .LBB6_1151
	s_branch .LBB6_1133
.LBB6_1092:                             ;   in Loop: Header=BB6_1017 Depth=2
	s_delay_alu instid0(VALU_DEP_1) | instskip(SKIP_1) | instid1(VALU_DEP_1)
	v_ashrrev_i32_e32 v16, 31, v9
	s_mov_b32 s13, exec_lo
	v_lshrrev_b32_e32 v16, 20, v16
	s_delay_alu instid0(VALU_DEP_1) | instskip(NEXT) | instid1(VALU_DEP_1)
	v_add_nc_u32_e32 v16, v9, v16
	v_ashrrev_i32_e32 v115, 12, v16
	s_delay_alu instid0(VALU_DEP_1) | instskip(NEXT) | instid1(VALU_DEP_1)
	v_sub_nc_u32_e32 v114, v115, v62
	v_cmpx_lt_i32_e32 0, v114
	s_cbranch_execz .LBB6_1096
; %bb.1093:                             ;   in Loop: Header=BB6_1017 Depth=2
	v_mov_b64_e32 v[102:103], v[100:101]
	v_mov_b64_e32 v[112:113], v[98:99]
	s_mov_b32 s40, 0
.LBB6_1094:                             ;   Parent Loop BB6_47 Depth=1
                                        ;     Parent Loop BB6_1017 Depth=2
                                        ; =>    This Inner Loop Header: Depth=3
	s_delay_alu instid0(VALU_DEP_1)
	v_add_nc_u64_e32 v[118:119], v[80:81], v[112:113]
	v_sub_nc_u32_e32 v114, v114, v32
	v_add_nc_u64_e32 v[112:113], v[112:113], v[48:49]
	s_clause 0x7
	global_load_b128 v[16:19], v[118:119], off th:TH_LOAD_NT
	global_load_b128 v[36:39], v[118:119], off offset:512 th:TH_LOAD_NT
	global_load_b128 v[40:43], v[118:119], off offset:1024 th:TH_LOAD_NT
	;; [unrolled: 1-line block ×7, first 2 shown]
	s_wait_xcnt 0x0
	v_add_nc_u64_e32 v[118:119], v[80:81], v[102:103]
	v_add_nc_u64_e32 v[102:103], v[102:103], v[48:49]
	v_cmp_gt_i32_e32 vcc_lo, 1, v114
	s_wait_loadcnt 0x7
	global_store_b128 v[118:119], v[16:19], off th:TH_STORE_NT
	s_wait_loadcnt 0x6
	global_store_b128 v[118:119], v[36:39], off offset:512 th:TH_STORE_NT
	s_wait_loadcnt 0x5
	global_store_b128 v[118:119], v[40:43], off offset:1024 th:TH_STORE_NT
	;; [unrolled: 2-line block ×7, first 2 shown]
	s_or_b32 s40, vcc_lo, s40
	s_wait_xcnt 0x0
	s_and_not1_b32 exec_lo, exec_lo, s40
	s_cbranch_execnz .LBB6_1094
; %bb.1095:                             ;   in Loop: Header=BB6_1017 Depth=2
	s_or_b32 exec_lo, exec_lo, s40
.LBB6_1096:                             ;   in Loop: Header=BB6_1017 Depth=2
	s_delay_alu instid0(SALU_CYCLE_1) | instskip(SKIP_3) | instid1(VALU_DEP_1)
	s_or_b32 exec_lo, exec_lo, s13
	v_dual_lshlrev_b32 v112, 12, v115 :: v_dual_mov_b32 v118, 0
	s_mov_b32 s41, 0
	s_mov_b32 s40, exec_lo
                                        ; implicit-def: $vgpr119
                                        ; implicit-def: $vgpr102
	v_cmpx_ne_u32_e64 v9, v112
	s_cbranch_execz .LBB6_1104
; %bb.1097:                             ;   in Loop: Header=BB6_1017 Depth=2
	v_dual_lshlrev_b32 v16, 5, v114 :: v_dual_sub_nc_u32 v18, v9, v112
	s_mov_b32 s41, exec_lo
	s_delay_alu instid0(VALU_DEP_1) | instskip(NEXT) | instid1(VALU_DEP_1)
	v_dual_sub_nc_u32 v16, v63, v16 :: v_dual_ashrrev_i32 v19, 31, v18
	v_dual_ashrrev_i32 v17, 31, v16 :: v_dual_lshrrev_b32 v19, 23, v19
	s_delay_alu instid0(VALU_DEP_1) | instskip(NEXT) | instid1(VALU_DEP_1)
	v_lshrrev_b32_e32 v17, 27, v17
	v_add_nc_u32_e32 v17, v16, v17
	s_delay_alu instid0(VALU_DEP_1) | instskip(NEXT) | instid1(VALU_DEP_1)
	v_and_b32_e32 v36, 0xffffffe0, v17
	v_dual_add_nc_u32 v19, v18, v19 :: v_dual_sub_nc_u32 v114, v16, v36
	s_delay_alu instid0(VALU_DEP_1) | instskip(SKIP_1) | instid1(VALU_DEP_2)
	v_and_b32_e32 v113, 0xfffffe00, v19
	v_dual_ashrrev_i32 v16, 5, v17 :: v_dual_ashrrev_i32 v19, 9, v19
	v_dual_lshlrev_b32 v17, 4, v114 :: v_dual_sub_nc_u32 v115, v18, v113
	s_delay_alu instid0(VALU_DEP_1) | instskip(NEXT) | instid1(VALU_DEP_2)
	v_lshl_add_u32 v102, v16, 9, v17
	v_cmp_lt_i32_e32 vcc_lo, 15, v115
	s_delay_alu instid0(VALU_DEP_4) | instskip(NEXT) | instid1(VALU_DEP_1)
	v_add_co_ci_u32_e64 v17, null, 0, v19, vcc_lo
	v_dual_sub_nc_u32 v118, v18, v102 :: v_dual_sub_nc_u32 v40, v17, v16
	s_delay_alu instid0(VALU_DEP_1)
	v_cmpx_lt_i32_e32 15, v118
	s_cbranch_execz .LBB6_1101
; %bb.1098:                             ;   in Loop: Header=BB6_1017 Depth=2
	v_add_nc_u32_e32 v102, v102, v112
	s_mov_b32 s60, 0
	s_delay_alu instid0(VALU_DEP_1)
	v_ashrrev_i32_e32 v103, 31, v102
.LBB6_1099:                             ;   Parent Loop BB6_47 Depth=1
                                        ;     Parent Loop BB6_1017 Depth=2
                                        ; =>    This Inner Loop Header: Depth=3
	s_delay_alu instid0(VALU_DEP_1) | instskip(SKIP_3) | instid1(VALU_DEP_3)
	v_add_nc_u64_e32 v[16:17], v[98:99], v[102:103]
	v_dual_sub_nc_u32 v118, v118, v50 :: v_dual_sub_nc_u32 v40, v40, v32
	v_add_nc_u64_e32 v[36:37], v[100:101], v[102:103]
	v_add_nc_u64_e32 v[102:103], v[102:103], v[50:51]
	v_cmp_gt_i32_e64 s13, 16, v118
	global_load_b128 v[16:19], v[16:17], off th:TH_LOAD_NT
	s_or_b32 s60, s13, s60
	s_wait_loadcnt 0x0
	global_store_b128 v[36:37], v[16:19], off th:TH_STORE_NT
	s_wait_xcnt 0x0
	s_and_not1_b32 exec_lo, exec_lo, s60
	s_cbranch_execnz .LBB6_1099
; %bb.1100:                             ;   in Loop: Header=BB6_1017 Depth=2
	s_or_b32 exec_lo, exec_lo, s60
.LBB6_1101:                             ;   in Loop: Header=BB6_1017 Depth=2
	s_delay_alu instid0(SALU_CYCLE_1) | instskip(SKIP_3) | instid1(VALU_DEP_1)
	s_or_b32 exec_lo, exec_lo, s41
	v_dual_mov_b32 v118, 0 :: v_dual_bitop2_b32 v103, 12, v9 bitop3:0x40
	s_mov_b32 s41, 0
	s_mov_b32 s60, exec_lo
                                        ; implicit-def: $vgpr119
                                        ; implicit-def: $vgpr102
	v_cndmask_b32_e32 v9, v115, v103, vcc_lo
	s_delay_alu instid0(VALU_DEP_1)
	v_cmpx_ne_u32_e32 0, v9
	s_cbranch_execz .LBB6_1103
; %bb.1102:                             ;   in Loop: Header=BB6_1017 Depth=2
	v_cmp_lt_i32_e64 s13, 0, v40
	s_mov_b32 s41, exec_lo
	v_dual_sub_nc_u32 v17, v115, v103 :: v_dual_cndmask_b32 v16, 0, v32, s13
	s_delay_alu instid0(VALU_DEP_1) | instskip(NEXT) | instid1(VALU_DEP_1)
	v_dual_cndmask_b32 v17, 0, v17 :: v_dual_sub_nc_u32 v16, v16, v40
	v_add3_u32 v118, v113, v112, v17
	s_delay_alu instid0(VALU_DEP_2) | instskip(NEXT) | instid1(VALU_DEP_1)
	v_lshl_add_u32 v119, v16, 5, v114
	v_ashrrev_i32_e32 v16, 31, v119
	s_delay_alu instid0(VALU_DEP_1) | instskip(NEXT) | instid1(VALU_DEP_1)
	v_lshrrev_b32_e32 v16, 27, v16
	v_add_nc_u32_e32 v16, v119, v16
	s_delay_alu instid0(VALU_DEP_1)
	v_ashrrev_i32_e32 v102, 5, v16
.LBB6_1103:                             ;   in Loop: Header=BB6_1017 Depth=2
	s_or_b32 exec_lo, exec_lo, s60
	s_delay_alu instid0(SALU_CYCLE_1)
	s_and_b32 s41, s41, exec_lo
.LBB6_1104:                             ;   in Loop: Header=BB6_1017 Depth=2
	s_or_b32 exec_lo, exec_lo, s40
	s_and_saveexec_b32 s13, s41
	s_cbranch_execz .LBB6_1113
.LBB6_1105:                             ;   in Loop: Header=BB6_1017 Depth=2
	v_ashrrev_i32_e32 v16, 31, v9
	s_mov_b32 s40, exec_lo
	s_delay_alu instid0(VALU_DEP_1) | instskip(NEXT) | instid1(VALU_DEP_1)
	v_lshrrev_b32_e32 v16, 22, v16
	v_add_nc_u32_e32 v16, v9, v16
	s_delay_alu instid0(VALU_DEP_1) | instskip(NEXT) | instid1(VALU_DEP_1)
	v_dual_ashrrev_i32 v42, 10, v16 :: v_dual_ashrrev_i32 v16, 31, v119
	v_dual_sub_nc_u32 v40, v42, v102 :: v_dual_lshrrev_b32 v41, 27, v16
	s_delay_alu instid0(VALU_DEP_1)
	v_cmpx_lt_i32_e32 0, v40
	s_cbranch_execz .LBB6_1109
; %bb.1106:                             ;   in Loop: Header=BB6_1017 Depth=2
	s_delay_alu instid0(VALU_DEP_2) | instskip(SKIP_3) | instid1(VALU_DEP_3)
	v_dual_add_nc_u32 v16, v119, v41 :: v_dual_lshlrev_b32 v17, 10, v102
	v_mov_b64_e32 v[112:113], v[100:101]
	v_mov_b64_e32 v[114:115], v[98:99]
	s_mov_b32 s41, 0
	v_and_b32_e32 v16, 0x3fffffe0, v16
	s_delay_alu instid0(VALU_DEP_1) | instskip(NEXT) | instid1(VALU_DEP_1)
	v_sub_nc_u32_e32 v16, v119, v16
	v_lshlrev_b32_e32 v16, 2, v16
	s_delay_alu instid0(VALU_DEP_1) | instskip(NEXT) | instid1(VALU_DEP_1)
	v_add3_u32 v102, v16, v118, v17
	v_ashrrev_i32_e32 v103, 31, v102
.LBB6_1107:                             ;   Parent Loop BB6_47 Depth=1
                                        ;     Parent Loop BB6_1017 Depth=2
                                        ; =>    This Inner Loop Header: Depth=3
	s_delay_alu instid0(VALU_DEP_1)
	v_add_nc_u64_e32 v[16:17], v[102:103], v[114:115]
	v_sub_nc_u32_e32 v40, v40, v32
	v_add_nc_u64_e32 v[114:115], v[114:115], v[52:53]
	s_clause 0x7
	flat_load_b32 v18, v[16:17] th:TH_LOAD_NT
	flat_load_b32 v19, v[16:17] offset:128 th:TH_LOAD_NT
	flat_load_b32 v36, v[16:17] offset:256 th:TH_LOAD_NT
	;; [unrolled: 1-line block ×7, first 2 shown]
	s_wait_xcnt 0x0
	v_add_nc_u64_e32 v[16:17], v[102:103], v[112:113]
	v_add_nc_u64_e32 v[112:113], v[112:113], v[52:53]
	v_cmp_gt_i32_e32 vcc_lo, 1, v40
	s_wait_loadcnt_dscnt 0x707
	flat_store_b32 v[16:17], v18 th:TH_STORE_NT
	s_wait_loadcnt_dscnt 0x607
	flat_store_b32 v[16:17], v19 offset:128 th:TH_STORE_NT
	s_wait_loadcnt_dscnt 0x507
	flat_store_b32 v[16:17], v36 offset:256 th:TH_STORE_NT
	;; [unrolled: 2-line block ×7, first 2 shown]
	s_or_b32 s41, vcc_lo, s41
	s_wait_xcnt 0x0
	s_and_not1_b32 exec_lo, exec_lo, s41
	s_cbranch_execnz .LBB6_1107
; %bb.1108:                             ;   in Loop: Header=BB6_1017 Depth=2
	s_or_b32 exec_lo, exec_lo, s41
.LBB6_1109:                             ;   in Loop: Header=BB6_1017 Depth=2
	s_delay_alu instid0(SALU_CYCLE_1) | instskip(SKIP_1) | instid1(VALU_DEP_1)
	s_or_b32 exec_lo, exec_lo, s40
	v_lshlrev_b32_e32 v102, 10, v42
	v_cmp_ne_u32_e32 vcc_lo, v9, v102
	s_and_b32 exec_lo, exec_lo, vcc_lo
	s_cbranch_execz .LBB6_1113
; %bb.1110:                             ;   in Loop: Header=BB6_1017 Depth=2
	v_dual_add_nc_u32 v16, v119, v41 :: v_dual_lshlrev_b32 v17, 5, v40
	s_delay_alu instid0(VALU_DEP_1) | instskip(NEXT) | instid1(VALU_DEP_1)
	v_and_b32_e32 v16, 0xffffffe0, v16
	v_sub_nc_u32_e32 v16, v119, v16
	s_delay_alu instid0(VALU_DEP_1) | instskip(NEXT) | instid1(VALU_DEP_1)
	v_sub_nc_u32_e32 v16, v16, v17
	v_ashrrev_i32_e32 v17, 31, v16
	s_delay_alu instid0(VALU_DEP_1) | instskip(NEXT) | instid1(VALU_DEP_1)
	v_lshrrev_b32_e32 v17, 27, v17
	v_add_nc_u32_e32 v17, v16, v17
	s_delay_alu instid0(VALU_DEP_1) | instskip(NEXT) | instid1(VALU_DEP_1)
	v_and_b32_e32 v18, 0x3fffffe0, v17
	v_dual_lshlrev_b32 v17, 2, v17 :: v_dual_sub_nc_u32 v16, v16, v18
	s_delay_alu instid0(VALU_DEP_1) | instskip(NEXT) | instid1(VALU_DEP_2)
	v_and_b32_e32 v17, 0xffffff80, v17
	v_lshlrev_b32_e32 v16, 2, v16
	s_delay_alu instid0(VALU_DEP_1) | instskip(NEXT) | instid1(VALU_DEP_1)
	v_add3_u32 v102, v17, v16, v102
	v_sub_nc_u32_e32 v9, v9, v102
	s_delay_alu instid0(VALU_DEP_1)
	v_cmp_lt_i32_e32 vcc_lo, 3, v9
	s_and_b32 exec_lo, exec_lo, vcc_lo
	s_cbranch_execz .LBB6_1113
; %bb.1111:                             ;   in Loop: Header=BB6_1017 Depth=2
	v_add_nc_u32_e32 v102, v102, v118
	s_mov_b32 s40, 0
	s_delay_alu instid0(VALU_DEP_1)
	v_ashrrev_i32_e32 v103, 31, v102
.LBB6_1112:                             ;   Parent Loop BB6_47 Depth=1
                                        ;     Parent Loop BB6_1017 Depth=2
                                        ; =>    This Inner Loop Header: Depth=3
	s_delay_alu instid0(VALU_DEP_1) | instskip(SKIP_1) | instid1(VALU_DEP_1)
	v_add_nc_u64_e32 v[16:17], v[98:99], v[102:103]
	v_sub_nc_u32_e32 v9, v9, v54
	v_cmp_gt_i32_e32 vcc_lo, 4, v9
	flat_load_b32 v18, v[16:17] th:TH_LOAD_NT
	s_wait_xcnt 0x0
	v_add_nc_u64_e32 v[16:17], v[100:101], v[102:103]
	v_add_nc_u64_e32 v[102:103], v[102:103], v[54:55]
	s_or_b32 s40, vcc_lo, s40
	s_wait_loadcnt_dscnt 0x0
	flat_store_b32 v[16:17], v18 th:TH_STORE_NT
	s_wait_xcnt 0x0
	s_and_not1_b32 exec_lo, exec_lo, s40
	s_cbranch_execnz .LBB6_1112
.LBB6_1113:                             ;   in Loop: Header=BB6_1017 Depth=2
	s_or_b32 exec_lo, exec_lo, s13
	v_cmp_lt_i32_e64 s13, 0, v2
	s_and_saveexec_b32 s40, s2
	s_cbranch_execz .LBB6_1088
.LBB6_1114:                             ;   in Loop: Header=BB6_1017 Depth=2
	s_and_saveexec_b32 s41, s3
	s_delay_alu instid0(SALU_CYCLE_1)
	s_xor_b32 s41, exec_lo, s41
	s_cbranch_execz .LBB6_1129
; %bb.1115:                             ;   in Loop: Header=BB6_1017 Depth=2
	s_and_saveexec_b32 s60, s6
	s_cbranch_execz .LBB6_1128
; %bb.1116:                             ;   in Loop: Header=BB6_1017 Depth=2
	s_mov_b32 s62, exec_lo
	s_mov_b32 s61, exec_lo
	v_mbcnt_lo_u32_b32 v2, s62, 0
	global_wb scope:SCOPE_DEV
	s_wait_storecnt 0x0
	s_wait_loadcnt_dscnt 0x0
	global_inv scope:SCOPE_DEV
	v_cmpx_eq_u32_e32 0, v2
	s_cbranch_execz .LBB6_1118
; %bb.1117:                             ;   in Loop: Header=BB6_1017 Depth=2
	s_bcnt1_i32_b32 s62, s62
	s_delay_alu instid0(SALU_CYCLE_1)
	v_mov_b32_e32 v2, s62
	s_wait_loadcnt 0x0
	ds_add_u64 v0, v[2:3]
	s_trap 2
.LBB6_1118:                             ;   in Loop: Header=BB6_1017 Depth=2
	s_or_b32 exec_lo, exec_lo, s61
	s_trap 2
	ds_load_b64 v[16:17], v0
	s_wait_dscnt 0x0
	v_add_nc_u64_e32 v[12:13], v[12:13], v[32:33]
	s_mov_b32 s61, exec_lo
	s_delay_alu instid0(VALU_DEP_1)
	v_cmpx_lt_u64_e64 v[16:17], v[12:13]
	s_cbranch_execz .LBB6_1127
; %bb.1119:                             ;   in Loop: Header=BB6_1017 Depth=2
	s_mov_b32 s62, 0
	s_mov_b32 s73, 0
                                        ; implicit-def: $sgpr63
                                        ; implicit-def: $sgpr72
	s_branch .LBB6_1121
.LBB6_1120:                             ;   in Loop: Header=BB6_1121 Depth=3
	s_or_b32 exec_lo, exec_lo, s75
	s_delay_alu instid0(SALU_CYCLE_1) | instskip(NEXT) | instid1(SALU_CYCLE_1)
	s_and_b32 s74, exec_lo, s76
	s_or_b32 s62, s74, s62
	s_and_not1_b32 s63, s63, exec_lo
	s_and_b32 s74, s72, exec_lo
	s_delay_alu instid0(SALU_CYCLE_1)
	s_or_b32 s63, s63, s74
	s_and_not1_b32 exec_lo, exec_lo, s62
	s_cbranch_execz .LBB6_1125
.LBB6_1121:                             ;   Parent Loop BB6_47 Depth=1
                                        ;     Parent Loop BB6_1017 Depth=2
                                        ; =>    This Inner Loop Header: Depth=3
	s_add_co_i32 s73, s73, 1
	s_delay_alu instid0(SALU_CYCLE_1) | instskip(SKIP_1) | instid1(SALU_CYCLE_1)
	s_cmp_lg_u32 s73, 0x2710
	s_cselect_b32 s74, -1, 0
	s_and_b32 vcc_lo, exec_lo, s74
	s_cbranch_vccz .LBB6_1123
; %bb.1122:                             ;   in Loop: Header=BB6_1121 Depth=3
	s_mov_b32 s76, -1
	s_or_b32 s72, s72, exec_lo
	s_and_saveexec_b32 s75, s74
	s_cbranch_execz .LBB6_1120
	s_branch .LBB6_1124
.LBB6_1123:                             ;   in Loop: Header=BB6_1121 Depth=3
	s_trap 2
	ds_load_b64 v[16:17], v0
	s_and_not1_b32 s74, s74, exec_lo
	s_mov_b32 s73, 0
	s_wait_loadcnt_dscnt 0x0
	flat_load_b32 v2, v[16:17] scope:SCOPE_SYS
	s_wait_loadcnt_dscnt 0x0
	global_inv scope:SCOPE_SYS
	v_cmp_eq_u32_e32 vcc_lo, 0, v2
	s_and_b32 s75, vcc_lo, exec_lo
	s_delay_alu instid0(SALU_CYCLE_1)
	s_or_b32 s74, s74, s75
	s_mov_b32 s76, -1
	s_or_b32 s72, s72, exec_lo
	s_and_saveexec_b32 s75, s74
	s_cbranch_execz .LBB6_1120
.LBB6_1124:                             ;   in Loop: Header=BB6_1121 Depth=3
	s_sleep 1
	s_trap 2
	ds_load_b64 v[16:17], v0
	s_wait_dscnt 0x0
	s_and_not1_b32 s72, s72, exec_lo
	v_cmp_ge_u64_e32 vcc_lo, v[16:17], v[12:13]
	s_or_not1_b32 s76, vcc_lo, exec_lo
	s_branch .LBB6_1120
.LBB6_1125:                             ;   in Loop: Header=BB6_1017 Depth=2
	s_or_b32 exec_lo, exec_lo, s62
	s_and_saveexec_b32 s62, s63
	s_delay_alu instid0(SALU_CYCLE_1)
	s_xor_b32 s62, exec_lo, s62
	s_cbranch_execz .LBB6_1127
; %bb.1126:                             ;   in Loop: Header=BB6_1017 Depth=2
	ds_store_b32 v0, v59
	s_trap 2
.LBB6_1127:                             ;   in Loop: Header=BB6_1017 Depth=2
	s_or_b32 exec_lo, exec_lo, s61
	;;#ASMSTART
	s_wakeup
	;;#ASMEND
.LBB6_1128:                             ;   in Loop: Header=BB6_1017 Depth=2
	s_or_b32 exec_lo, exec_lo, s60
.LBB6_1129:                             ;   in Loop: Header=BB6_1017 Depth=2
	s_and_not1_saveexec_b32 s41, s41
	s_cbranch_execz .LBB6_1131
; %bb.1130:                             ;   in Loop: Header=BB6_1017 Depth=2
	global_wb scope:SCOPE_DEV
	s_wait_storecnt 0x0
	s_wait_loadcnt_dscnt 0x0
	global_inv scope:SCOPE_DEV
	s_barrier_signal -1
	s_barrier_wait -1
.LBB6_1131:                             ;   in Loop: Header=BB6_1017 Depth=2
	s_or_b32 exec_lo, exec_lo, s41
	s_delay_alu instid0(SALU_CYCLE_1) | instskip(SKIP_1) | instid1(SALU_CYCLE_1)
	s_or_b32 exec_lo, exec_lo, s40
	s_and_saveexec_b32 s40, s10
	s_xor_b32 s40, exec_lo, s40
	s_cbranch_execnz .LBB6_1089
.LBB6_1132:                             ;   in Loop: Header=BB6_1017 Depth=2
	s_and_not1_saveexec_b32 s13, s40
	s_cbranch_execz .LBB6_1151
.LBB6_1133:                             ;   in Loop: Header=BB6_1017 Depth=2
	s_and_saveexec_b32 s40, s3
	s_delay_alu instid0(SALU_CYCLE_1)
	s_xor_b32 s40, exec_lo, s40
	s_cbranch_execz .LBB6_1148
; %bb.1134:                             ;   in Loop: Header=BB6_1017 Depth=2
	s_and_saveexec_b32 s41, s6
	s_cbranch_execz .LBB6_1147
; %bb.1135:                             ;   in Loop: Header=BB6_1017 Depth=2
	s_mov_b32 s61, exec_lo
	s_mov_b32 s60, exec_lo
	v_mbcnt_lo_u32_b32 v2, s61, 0
	;;#ASMSTART
	s_waitcnt lgkmcnt(0) vmcnt(0)
	;;#ASMEND
	s_delay_alu instid0(VALU_DEP_1)
	v_cmpx_eq_u32_e32 0, v2
	s_cbranch_execz .LBB6_1137
; %bb.1136:                             ;   in Loop: Header=BB6_1017 Depth=2
	s_bcnt1_i32_b32 s61, s61
	s_delay_alu instid0(SALU_CYCLE_1)
	v_mov_b32_e32 v2, s61
	s_wait_storecnt 0x0
	s_wait_loadcnt_dscnt 0x0
	ds_add_u64 v0, v[2:3]
	s_trap 2
.LBB6_1137:                             ;   in Loop: Header=BB6_1017 Depth=2
	s_or_b32 exec_lo, exec_lo, s60
	s_trap 2
	ds_load_b64 v[16:17], v0
	s_wait_dscnt 0x0
	v_add_nc_u64_e32 v[12:13], v[12:13], v[32:33]
	s_mov_b32 s60, exec_lo
	s_delay_alu instid0(VALU_DEP_1)
	v_cmpx_lt_u64_e64 v[16:17], v[12:13]
	s_cbranch_execz .LBB6_1146
; %bb.1138:                             ;   in Loop: Header=BB6_1017 Depth=2
	s_mov_b32 s61, 0
	s_mov_b32 s72, 0
                                        ; implicit-def: $sgpr62
                                        ; implicit-def: $sgpr63
	s_branch .LBB6_1140
.LBB6_1139:                             ;   in Loop: Header=BB6_1140 Depth=3
	s_or_b32 exec_lo, exec_lo, s74
	s_delay_alu instid0(SALU_CYCLE_1) | instskip(NEXT) | instid1(SALU_CYCLE_1)
	s_and_b32 s73, exec_lo, s75
	s_or_b32 s61, s73, s61
	s_and_not1_b32 s62, s62, exec_lo
	s_and_b32 s73, s63, exec_lo
	s_delay_alu instid0(SALU_CYCLE_1)
	s_or_b32 s62, s62, s73
	s_and_not1_b32 exec_lo, exec_lo, s61
	s_cbranch_execz .LBB6_1144
.LBB6_1140:                             ;   Parent Loop BB6_47 Depth=1
                                        ;     Parent Loop BB6_1017 Depth=2
                                        ; =>    This Inner Loop Header: Depth=3
	s_add_co_i32 s72, s72, 1
	s_delay_alu instid0(SALU_CYCLE_1) | instskip(SKIP_1) | instid1(SALU_CYCLE_1)
	s_cmp_lg_u32 s72, 0x2710
	s_cselect_b32 s73, -1, 0
	s_and_b32 vcc_lo, exec_lo, s73
	s_cbranch_vccz .LBB6_1142
; %bb.1141:                             ;   in Loop: Header=BB6_1140 Depth=3
	s_mov_b32 s75, -1
	s_or_b32 s63, s63, exec_lo
	s_and_saveexec_b32 s74, s73
	s_cbranch_execz .LBB6_1139
	s_branch .LBB6_1143
.LBB6_1142:                             ;   in Loop: Header=BB6_1140 Depth=3
	s_trap 2
	ds_load_b64 v[16:17], v0
	s_and_not1_b32 s73, s73, exec_lo
	s_mov_b32 s72, 0
	s_wait_storecnt 0x0
	s_wait_loadcnt_dscnt 0x0
	flat_load_b32 v2, v[16:17] scope:SCOPE_SYS
	s_wait_loadcnt_dscnt 0x0
	global_inv scope:SCOPE_SYS
	v_cmp_eq_u32_e32 vcc_lo, 0, v2
	s_and_b32 s74, vcc_lo, exec_lo
	s_delay_alu instid0(SALU_CYCLE_1)
	s_or_b32 s73, s73, s74
	s_mov_b32 s75, -1
	s_or_b32 s63, s63, exec_lo
	s_and_saveexec_b32 s74, s73
	s_cbranch_execz .LBB6_1139
.LBB6_1143:                             ;   in Loop: Header=BB6_1140 Depth=3
	s_sleep 1
	s_trap 2
	ds_load_b64 v[16:17], v0
	s_wait_dscnt 0x0
	s_and_not1_b32 s63, s63, exec_lo
	v_cmp_ge_u64_e32 vcc_lo, v[16:17], v[12:13]
	s_or_not1_b32 s75, vcc_lo, exec_lo
	s_branch .LBB6_1139
.LBB6_1144:                             ;   in Loop: Header=BB6_1017 Depth=2
	s_or_b32 exec_lo, exec_lo, s61
	s_and_saveexec_b32 s61, s62
	s_delay_alu instid0(SALU_CYCLE_1)
	s_xor_b32 s61, exec_lo, s61
	s_cbranch_execz .LBB6_1146
; %bb.1145:                             ;   in Loop: Header=BB6_1017 Depth=2
	ds_store_b32 v0, v59
	s_trap 2
.LBB6_1146:                             ;   in Loop: Header=BB6_1017 Depth=2
	s_or_b32 exec_lo, exec_lo, s60
	;;#ASMSTART
	s_wakeup
	;;#ASMEND
.LBB6_1147:                             ;   in Loop: Header=BB6_1017 Depth=2
	s_or_b32 exec_lo, exec_lo, s41
.LBB6_1148:                             ;   in Loop: Header=BB6_1017 Depth=2
	s_and_not1_saveexec_b32 s40, s40
	s_cbranch_execz .LBB6_1150
; %bb.1149:                             ;   in Loop: Header=BB6_1017 Depth=2
	;;#ASMSTART
	s_waitcnt lgkmcnt(0) vmcnt(0)
	;;#ASMEND
	s_barrier_signal -1
	s_barrier_wait -1
.LBB6_1150:                             ;   in Loop: Header=BB6_1017 Depth=2
	s_or_b32 exec_lo, exec_lo, s40
.LBB6_1151:                             ;   in Loop: Header=BB6_1017 Depth=2
	s_delay_alu instid0(SALU_CYCLE_1) | instskip(SKIP_2) | instid1(VALU_DEP_1)
	s_or_b32 exec_lo, exec_lo, s13
	v_and_b32_e32 v2, 32, v30
	s_mov_b32 s13, exec_lo
	v_cmpx_ne_u32_e32 0, v2
	s_cbranch_execz .LBB6_1016
; %bb.1152:                             ;   in Loop: Header=BB6_1017 Depth=2
	v_add_nc_u64_e32 v[96:97], 2, v[96:97]
	global_wb scope:SCOPE_SYS
	s_wait_storecnt 0x0
	s_wait_loadcnt_dscnt 0x0
	flat_store_b64 v[20:21], v[96:97] scope:SCOPE_SYS
	s_branch .LBB6_1016
.LBB6_1153:                             ;   in Loop: Header=BB6_47 Depth=1
	s_or_b32 exec_lo, exec_lo, s15
.LBB6_1154:                             ;   in Loop: Header=BB6_47 Depth=1
	s_delay_alu instid0(SALU_CYCLE_1) | instskip(NEXT) | instid1(SALU_CYCLE_1)
	s_or_b32 exec_lo, exec_lo, s14
	s_mov_b32 s14, exec_lo
	v_cmpx_gt_i32_e32 2, v2
	s_cbranch_execz .LBB6_46
; %bb.1155:                             ;   in Loop: Header=BB6_47 Depth=1
	v_cmp_eq_u32_e64 s18, 0, v2
	s_mov_b32 s15, 0
	s_branch .LBB6_1157
.LBB6_1156:                             ;   in Loop: Header=BB6_1157 Depth=2
	s_wait_xcnt 0x0
	s_or_b32 exec_lo, exec_lo, s13
	v_add_nc_u32_e32 v8, v117, v8
	s_mov_b32 s18, 0
	s_and_not1_b32 exec_lo, exec_lo, s15
	s_cbranch_execz .LBB6_45
.LBB6_1157:                             ;   Parent Loop BB6_47 Depth=1
                                        ; =>  This Loop Header: Depth=2
                                        ;       Child Loop BB6_1163 Depth 3
                                        ;       Child Loop BB6_1187 Depth 3
	;; [unrolled: 1-line block ×3, first 2 shown]
	v_and_b32_e32 v2, 4, v30
	s_mov_b32 s27, exec_lo
	s_delay_alu instid0(VALU_DEP_1)
	v_cmpx_ne_u32_e32 0, v2
	s_cbranch_execz .LBB6_1179
; %bb.1158:                             ;   in Loop: Header=BB6_1157 Depth=2
	v_add_nc_u64_e32 v[10:11], 2, v[96:97]
	s_mov_b32 s40, exec_lo
	s_wait_loadcnt_dscnt 0x1
	s_delay_alu instid0(VALU_DEP_1)
	v_cmpx_lt_u64_e64 v[28:29], v[10:11]
	s_cbranch_execz .LBB6_1170
; %bb.1159:                             ;   in Loop: Header=BB6_1157 Depth=2
	v_and_b32_e32 v2, 64, v30
	s_mov_b32 s41, 0
	s_mov_b32 s63, 0
                                        ; implicit-def: $sgpr60
                                        ; implicit-def: $sgpr61
                                        ; implicit-def: $sgpr62
	s_delay_alu instid0(VALU_DEP_1)
	v_cmp_eq_u32_e32 vcc_lo, 0, v2
	s_branch .LBB6_1163
.LBB6_1160:                             ;   in Loop: Header=BB6_1163 Depth=3
	s_wait_loadcnt_dscnt 0x0
	v_cmp_ge_u64_e64 s13, v[28:29], v[10:11]
	s_or_b32 s74, s74, exec_lo
	s_or_not1_b32 s73, s13, exec_lo
.LBB6_1161:                             ;   in Loop: Header=BB6_1163 Depth=3
	s_or_b32 exec_lo, exec_lo, s76
	s_delay_alu instid0(SALU_CYCLE_1)
	s_and_not1_b32 s13, s62, exec_lo
	s_and_b32 s62, s74, exec_lo
	s_and_not1_b32 s61, s61, exec_lo
	s_and_b32 s73, s73, exec_lo
	s_or_b32 s62, s13, s62
	s_or_b32 s61, s61, s73
.LBB6_1162:                             ;   in Loop: Header=BB6_1163 Depth=3
	s_or_b32 exec_lo, exec_lo, s72
	s_delay_alu instid0(SALU_CYCLE_1) | instskip(NEXT) | instid1(SALU_CYCLE_1)
	s_and_b32 s13, exec_lo, s61
	s_or_b32 s41, s13, s41
	s_and_not1_b32 s13, s60, exec_lo
	s_and_b32 s60, s62, exec_lo
	s_delay_alu instid0(SALU_CYCLE_1)
	s_or_b32 s60, s13, s60
	s_and_not1_b32 exec_lo, exec_lo, s41
	s_cbranch_execz .LBB6_1167
.LBB6_1163:                             ;   Parent Loop BB6_47 Depth=1
                                        ;     Parent Loop BB6_1157 Depth=2
                                        ; =>    This Inner Loop Header: Depth=3
	s_sleep 1
	s_wait_loadcnt_dscnt 0x0
	flat_load_b64 v[28:29], v[20:21] scope:SCOPE_SYS
	s_or_b32 s62, s62, exec_lo
	s_or_b32 s61, s61, exec_lo
                                        ; implicit-def: $vgpr2
	s_wait_xcnt 0x0
	s_and_saveexec_b32 s72, vcc_lo
	s_cbranch_execz .LBB6_1162
; %bb.1164:                             ;   in Loop: Header=BB6_1163 Depth=3
	s_cmp_lt_i32 s63, 0x270f
	s_mov_b32 s73, -1
	s_cselect_b32 s75, -1, 0
	s_cmp_gt_i32 s63, 0x270e
	s_cbranch_scc0 .LBB6_1166
; %bb.1165:                             ;   in Loop: Header=BB6_1163 Depth=3
	s_trap 2
	ds_load_b64 v[16:17], v0
	s_and_not1_b32 s63, s75, exec_lo
	s_mov_b32 s74, 0
	s_wait_storecnt 0x0
	s_wait_loadcnt_dscnt 0x0
	flat_load_b32 v2, v[16:17] scope:SCOPE_SYS
	s_wait_loadcnt_dscnt 0x0
	global_inv scope:SCOPE_SYS
	v_cmp_eq_u32_e64 s13, 0, v2
	s_and_b32 s13, s13, exec_lo
	s_delay_alu instid0(SALU_CYCLE_1)
	s_or_b32 s75, s63, s13
	s_mov_b32 s63, 0
	s_and_saveexec_b32 s76, s75
	s_cbranch_execz .LBB6_1161
	s_branch .LBB6_1160
.LBB6_1166:                             ;   in Loop: Header=BB6_1163 Depth=3
	s_add_co_i32 s63, s63, 1
	s_mov_b32 s74, -1
                                        ; implicit-def: $vgpr2
	s_and_saveexec_b32 s76, s75
	s_cbranch_execz .LBB6_1161
	s_branch .LBB6_1160
.LBB6_1167:                             ;   in Loop: Header=BB6_1157 Depth=2
	s_or_b32 exec_lo, exec_lo, s41
	s_xor_b32 s13, s60, -1
	s_delay_alu instid0(SALU_CYCLE_1) | instskip(NEXT) | instid1(SALU_CYCLE_1)
	s_and_saveexec_b32 s41, s13
	s_xor_b32 s13, exec_lo, s41
	s_cbranch_execz .LBB6_1169
; %bb.1168:                             ;   in Loop: Header=BB6_1157 Depth=2
	v_or_b32_e32 v30, 64, v30
	s_wait_storecnt 0x0
	s_wait_loadcnt_dscnt 0x0
	ds_store_b32 v0, v2
	s_trap 2
.LBB6_1169:                             ;   in Loop: Header=BB6_1157 Depth=2
	s_or_b32 exec_lo, exec_lo, s13
.LBB6_1170:                             ;   in Loop: Header=BB6_1157 Depth=2
	s_delay_alu instid0(SALU_CYCLE_1) | instskip(SKIP_3) | instid1(VALU_DEP_1)
	s_or_b32 exec_lo, exec_lo, s40
	v_and_b32_e32 v2, 0x100, v30
	s_mov_b32 s13, -1
	;;#ASMSTART
	s_wakeup
	;;#ASMEND
	v_cmp_ne_u32_e32 vcc_lo, 0, v2
	v_and_b32_e32 v2, 7, v96
                                        ; implicit-def: $vgpr96_vgpr97
	s_and_saveexec_b32 s40, vcc_lo
	s_cbranch_execz .LBB6_1174
; %bb.1171:                             ;   in Loop: Header=BB6_1157 Depth=2
	s_delay_alu instid0(VALU_DEP_1)
	v_mad_nc_u64_u32 v[98:99], v2, 24, v[6:7]
	s_mov_b32 s41, exec_lo
                                        ; implicit-def: $vgpr96_vgpr97
	flat_load_b32 v9, v[98:99]
	s_wait_loadcnt_dscnt 0x0
	v_cmp_ne_u32_e32 vcc_lo, 1, v9
	s_wait_xcnt 0x0
	v_cmpx_eq_u32_e32 1, v9
	s_cbranch_execz .LBB6_1173
; %bb.1172:                             ;   in Loop: Header=BB6_1157 Depth=2
	flat_load_b32 v16, v[98:99] offset:4 scope:SCOPE_SYS
	s_wait_loadcnt_dscnt 0x0
	v_ashrrev_i32_e32 v17, 31, v16
	s_delay_alu instid0(VALU_DEP_1)
	v_lshrrev_b64 v[96:97], 2, v[16:17]
.LBB6_1173:                             ;   in Loop: Header=BB6_1157 Depth=2
	s_wait_xcnt 0x0
	s_or_b32 exec_lo, exec_lo, s41
	s_delay_alu instid0(SALU_CYCLE_1)
	s_or_not1_b32 s13, vcc_lo, exec_lo
.LBB6_1174:                             ;   in Loop: Header=BB6_1157 Depth=2
	s_or_b32 exec_lo, exec_lo, s40
	s_and_saveexec_b32 s40, s13
; %bb.1175:                             ;   in Loop: Header=BB6_1157 Depth=2
	v_mul_u64_e32 v[96:97], v[2:3], v[22:23]
; %bb.1176:                             ;   in Loop: Header=BB6_1157 Depth=2
	s_or_b32 exec_lo, exec_lo, s40
	v_and_b32_e32 v2, 0x2000, v30
	s_delay_alu instid0(VALU_DEP_2)
	v_lshl_add_u64 v[16:17], v[96:97], 2, v[24:25]
	s_mov_b32 s13, exec_lo
	ds_store_b64 v0, v[16:17] offset:720
	v_cmpx_ne_u32_e32 0, v2
	s_cbranch_execz .LBB6_1178
; %bb.1177:                             ;   in Loop: Header=BB6_1157 Depth=2
	ds_load_b64 v[16:17], v0 offset:872
	s_wait_dscnt 0x0
	v_add_nc_u64_e32 v[16:17], 1, v[16:17]
	ds_store_b64 v0, v[16:17] offset:872
.LBB6_1178:                             ;   in Loop: Header=BB6_1157 Depth=2
	s_or_b32 exec_lo, exec_lo, s13
	v_mov_b64_e32 v[96:97], v[10:11]
.LBB6_1179:                             ;   in Loop: Header=BB6_1157 Depth=2
	s_or_b32 exec_lo, exec_lo, s27
	s_xor_b32 s13, s18, -1
	s_delay_alu instid0(SALU_CYCLE_1) | instskip(NEXT) | instid1(SALU_CYCLE_1)
	s_and_b32 s13, exec_lo, s13
	s_or_b32 s15, s13, s15
	s_and_saveexec_b32 s13, s2
	s_cbranch_execz .LBB6_1198
; %bb.1180:                             ;   in Loop: Header=BB6_1157 Depth=2
	s_and_saveexec_b32 s18, s3
	s_delay_alu instid0(SALU_CYCLE_1)
	s_xor_b32 s18, exec_lo, s18
	s_cbranch_execz .LBB6_1195
; %bb.1181:                             ;   in Loop: Header=BB6_1157 Depth=2
	s_and_saveexec_b32 s27, s6
	s_cbranch_execz .LBB6_1194
; %bb.1182:                             ;   in Loop: Header=BB6_1157 Depth=2
	s_mov_b32 s41, exec_lo
	s_mov_b32 s40, exec_lo
	v_mbcnt_lo_u32_b32 v2, s41, 0
	global_wb scope:SCOPE_DEV
	s_wait_storecnt 0x0
	s_wait_loadcnt_dscnt 0x0
	global_inv scope:SCOPE_DEV
	v_cmpx_eq_u32_e32 0, v2
	s_cbranch_execz .LBB6_1184
; %bb.1183:                             ;   in Loop: Header=BB6_1157 Depth=2
	s_bcnt1_i32_b32 s41, s41
	s_delay_alu instid0(SALU_CYCLE_1)
	v_mov_b32_e32 v2, s41
	s_wait_loadcnt 0x0
	ds_add_u64 v0, v[2:3]
	s_trap 2
.LBB6_1184:                             ;   in Loop: Header=BB6_1157 Depth=2
	s_or_b32 exec_lo, exec_lo, s40
	s_trap 2
	ds_load_b64 v[10:11], v0
	s_wait_dscnt 0x0
	v_add_nc_u64_e32 v[12:13], v[12:13], v[32:33]
	s_mov_b32 s40, exec_lo
	s_delay_alu instid0(VALU_DEP_1)
	v_cmpx_lt_u64_e64 v[10:11], v[12:13]
	s_cbranch_execz .LBB6_1193
; %bb.1185:                             ;   in Loop: Header=BB6_1157 Depth=2
	s_mov_b32 s41, 0
	s_mov_b32 s62, 0
                                        ; implicit-def: $sgpr60
                                        ; implicit-def: $sgpr61
	s_branch .LBB6_1187
.LBB6_1186:                             ;   in Loop: Header=BB6_1187 Depth=3
	s_or_b32 exec_lo, exec_lo, s72
	s_delay_alu instid0(SALU_CYCLE_1) | instskip(NEXT) | instid1(SALU_CYCLE_1)
	s_and_b32 s63, exec_lo, s73
	s_or_b32 s41, s63, s41
	s_and_not1_b32 s60, s60, exec_lo
	s_and_b32 s63, s61, exec_lo
	s_delay_alu instid0(SALU_CYCLE_1)
	s_or_b32 s60, s60, s63
	s_and_not1_b32 exec_lo, exec_lo, s41
	s_cbranch_execz .LBB6_1191
.LBB6_1187:                             ;   Parent Loop BB6_47 Depth=1
                                        ;     Parent Loop BB6_1157 Depth=2
                                        ; =>    This Inner Loop Header: Depth=3
	s_add_co_i32 s62, s62, 1
	s_delay_alu instid0(SALU_CYCLE_1) | instskip(SKIP_1) | instid1(SALU_CYCLE_1)
	s_cmp_lg_u32 s62, 0x2710
	s_cselect_b32 s63, -1, 0
	s_and_b32 vcc_lo, exec_lo, s63
	s_cbranch_vccz .LBB6_1189
; %bb.1188:                             ;   in Loop: Header=BB6_1187 Depth=3
	s_mov_b32 s73, -1
	s_or_b32 s61, s61, exec_lo
	s_and_saveexec_b32 s72, s63
	s_cbranch_execz .LBB6_1186
	s_branch .LBB6_1190
.LBB6_1189:                             ;   in Loop: Header=BB6_1187 Depth=3
	s_trap 2
	ds_load_b64 v[10:11], v0
	s_and_not1_b32 s63, s63, exec_lo
	s_mov_b32 s62, 0
	s_wait_loadcnt_dscnt 0x0
	flat_load_b32 v2, v[10:11] scope:SCOPE_SYS
	s_wait_loadcnt_dscnt 0x0
	global_inv scope:SCOPE_SYS
	v_cmp_eq_u32_e32 vcc_lo, 0, v2
	s_and_b32 s72, vcc_lo, exec_lo
	s_delay_alu instid0(SALU_CYCLE_1)
	s_or_b32 s63, s63, s72
	s_mov_b32 s73, -1
	s_or_b32 s61, s61, exec_lo
	s_and_saveexec_b32 s72, s63
	s_cbranch_execz .LBB6_1186
.LBB6_1190:                             ;   in Loop: Header=BB6_1187 Depth=3
	s_sleep 1
	s_trap 2
	ds_load_b64 v[10:11], v0
	s_wait_dscnt 0x0
	s_and_not1_b32 s61, s61, exec_lo
	v_cmp_ge_u64_e32 vcc_lo, v[10:11], v[12:13]
	s_or_not1_b32 s73, vcc_lo, exec_lo
	s_branch .LBB6_1186
.LBB6_1191:                             ;   in Loop: Header=BB6_1157 Depth=2
	s_or_b32 exec_lo, exec_lo, s41
	s_and_saveexec_b32 s41, s60
	s_delay_alu instid0(SALU_CYCLE_1)
	s_xor_b32 s41, exec_lo, s41
	s_cbranch_execz .LBB6_1193
; %bb.1192:                             ;   in Loop: Header=BB6_1157 Depth=2
	ds_store_b32 v0, v59
	s_trap 2
.LBB6_1193:                             ;   in Loop: Header=BB6_1157 Depth=2
	s_or_b32 exec_lo, exec_lo, s40
	;;#ASMSTART
	s_wakeup
	;;#ASMEND
.LBB6_1194:                             ;   in Loop: Header=BB6_1157 Depth=2
	s_or_b32 exec_lo, exec_lo, s27
.LBB6_1195:                             ;   in Loop: Header=BB6_1157 Depth=2
	s_and_not1_saveexec_b32 s18, s18
	s_cbranch_execz .LBB6_1197
; %bb.1196:                             ;   in Loop: Header=BB6_1157 Depth=2
	global_wb scope:SCOPE_DEV
	s_wait_storecnt 0x0
	s_wait_loadcnt_dscnt 0x0
	global_inv scope:SCOPE_DEV
	s_barrier_signal -1
	s_barrier_wait -1
.LBB6_1197:                             ;   in Loop: Header=BB6_1157 Depth=2
	s_or_b32 exec_lo, exec_lo, s18
.LBB6_1198:                             ;   in Loop: Header=BB6_1157 Depth=2
	s_delay_alu instid0(SALU_CYCLE_1) | instskip(SKIP_1) | instid1(VALU_DEP_1)
	s_or_b32 exec_lo, exec_lo, s13
	v_sub_nc_u32_e32 v2, v116, v8
	v_min_i32_e32 v117, v117, v2
	s_and_saveexec_b32 s13, s10
	s_delay_alu instid0(SALU_CYCLE_1)
	s_xor_b32 s18, exec_lo, s13
	s_cbranch_execz .LBB6_1202
; %bb.1199:                             ;   in Loop: Header=BB6_1157 Depth=2
	s_trap 2
	ds_load_b32 v2, v0
	v_cmp_lt_i32_e32 vcc_lo, 0, v117
	s_wait_dscnt 0x0
	v_readfirstlane_b32 s13, v2
	v_and_b32_e32 v2, 16, v30
	s_cmp_eq_u32 s13, 0
	s_delay_alu instid0(VALU_DEP_1) | instskip(SKIP_1) | instid1(SALU_CYCLE_1)
	v_cmp_ne_u32_e64 s13, 0, v2
	s_cselect_b32 s27, -1, 0
	s_and_b32 s27, vcc_lo, s27
	s_delay_alu instid0(SALU_CYCLE_1) | instskip(NEXT) | instid1(SALU_CYCLE_1)
	s_and_b32 s27, s13, s27
	s_and_saveexec_b32 s13, s27
	s_cbranch_execz .LBB6_1201
; %bb.1200:                             ;   in Loop: Header=BB6_1157 Depth=2
	global_wb scope:SCOPE_SYS
	s_wait_loadcnt 0x0
	s_wait_storecnt 0x0
	global_inv scope:SCOPE_SYS
.LBB6_1201:                             ;   in Loop: Header=BB6_1157 Depth=2
	s_or_b32 exec_lo, exec_lo, s13
.LBB6_1202:                             ;   in Loop: Header=BB6_1157 Depth=2
	s_and_not1_saveexec_b32 s13, s18
	s_cbranch_execz .LBB6_1221
; %bb.1203:                             ;   in Loop: Header=BB6_1157 Depth=2
	s_and_saveexec_b32 s18, s3
	s_delay_alu instid0(SALU_CYCLE_1)
	s_xor_b32 s18, exec_lo, s18
	s_cbranch_execz .LBB6_1218
; %bb.1204:                             ;   in Loop: Header=BB6_1157 Depth=2
	s_and_saveexec_b32 s27, s6
	s_cbranch_execz .LBB6_1217
; %bb.1205:                             ;   in Loop: Header=BB6_1157 Depth=2
	s_mov_b32 s41, exec_lo
	s_mov_b32 s40, exec_lo
	v_mbcnt_lo_u32_b32 v2, s41, 0
	;;#ASMSTART
	s_waitcnt lgkmcnt(0) vmcnt(0)
	;;#ASMEND
	s_delay_alu instid0(VALU_DEP_1)
	v_cmpx_eq_u32_e32 0, v2
	s_cbranch_execz .LBB6_1207
; %bb.1206:                             ;   in Loop: Header=BB6_1157 Depth=2
	s_bcnt1_i32_b32 s41, s41
	s_delay_alu instid0(SALU_CYCLE_1)
	v_mov_b32_e32 v2, s41
	s_wait_storecnt 0x0
	s_wait_loadcnt_dscnt 0x0
	ds_add_u64 v0, v[2:3]
	s_trap 2
.LBB6_1207:                             ;   in Loop: Header=BB6_1157 Depth=2
	s_or_b32 exec_lo, exec_lo, s40
	s_trap 2
	ds_load_b64 v[10:11], v0
	s_wait_dscnt 0x0
	v_add_nc_u64_e32 v[12:13], v[12:13], v[32:33]
	s_mov_b32 s40, exec_lo
	s_delay_alu instid0(VALU_DEP_1)
	v_cmpx_lt_u64_e64 v[10:11], v[12:13]
	s_cbranch_execz .LBB6_1216
; %bb.1208:                             ;   in Loop: Header=BB6_1157 Depth=2
	s_mov_b32 s41, 0
	s_mov_b32 s62, 0
                                        ; implicit-def: $sgpr60
                                        ; implicit-def: $sgpr61
	s_branch .LBB6_1210
.LBB6_1209:                             ;   in Loop: Header=BB6_1210 Depth=3
	s_or_b32 exec_lo, exec_lo, s72
	s_delay_alu instid0(SALU_CYCLE_1) | instskip(NEXT) | instid1(SALU_CYCLE_1)
	s_and_b32 s63, exec_lo, s73
	s_or_b32 s41, s63, s41
	s_and_not1_b32 s60, s60, exec_lo
	s_and_b32 s63, s61, exec_lo
	s_delay_alu instid0(SALU_CYCLE_1)
	s_or_b32 s60, s60, s63
	s_and_not1_b32 exec_lo, exec_lo, s41
	s_cbranch_execz .LBB6_1214
.LBB6_1210:                             ;   Parent Loop BB6_47 Depth=1
                                        ;     Parent Loop BB6_1157 Depth=2
                                        ; =>    This Inner Loop Header: Depth=3
	s_add_co_i32 s62, s62, 1
	s_delay_alu instid0(SALU_CYCLE_1) | instskip(SKIP_1) | instid1(SALU_CYCLE_1)
	s_cmp_lg_u32 s62, 0x2710
	s_cselect_b32 s63, -1, 0
	s_and_b32 vcc_lo, exec_lo, s63
	s_cbranch_vccz .LBB6_1212
; %bb.1211:                             ;   in Loop: Header=BB6_1210 Depth=3
	s_mov_b32 s73, -1
	s_or_b32 s61, s61, exec_lo
	s_and_saveexec_b32 s72, s63
	s_cbranch_execz .LBB6_1209
	s_branch .LBB6_1213
.LBB6_1212:                             ;   in Loop: Header=BB6_1210 Depth=3
	s_trap 2
	ds_load_b64 v[10:11], v0
	s_and_not1_b32 s63, s63, exec_lo
	s_mov_b32 s62, 0
	s_wait_storecnt 0x0
	s_wait_loadcnt_dscnt 0x0
	flat_load_b32 v2, v[10:11] scope:SCOPE_SYS
	s_wait_loadcnt_dscnt 0x0
	global_inv scope:SCOPE_SYS
	v_cmp_eq_u32_e32 vcc_lo, 0, v2
	s_and_b32 s72, vcc_lo, exec_lo
	s_delay_alu instid0(SALU_CYCLE_1)
	s_or_b32 s63, s63, s72
	s_mov_b32 s73, -1
	s_or_b32 s61, s61, exec_lo
	s_and_saveexec_b32 s72, s63
	s_cbranch_execz .LBB6_1209
.LBB6_1213:                             ;   in Loop: Header=BB6_1210 Depth=3
	s_sleep 1
	s_trap 2
	ds_load_b64 v[10:11], v0
	s_wait_dscnt 0x0
	s_and_not1_b32 s61, s61, exec_lo
	v_cmp_ge_u64_e32 vcc_lo, v[10:11], v[12:13]
	s_or_not1_b32 s73, vcc_lo, exec_lo
	s_branch .LBB6_1209
.LBB6_1214:                             ;   in Loop: Header=BB6_1157 Depth=2
	s_or_b32 exec_lo, exec_lo, s41
	s_and_saveexec_b32 s41, s60
	s_delay_alu instid0(SALU_CYCLE_1)
	s_xor_b32 s41, exec_lo, s41
	s_cbranch_execz .LBB6_1216
; %bb.1215:                             ;   in Loop: Header=BB6_1157 Depth=2
	ds_store_b32 v0, v59
	s_trap 2
.LBB6_1216:                             ;   in Loop: Header=BB6_1157 Depth=2
	s_or_b32 exec_lo, exec_lo, s40
	;;#ASMSTART
	s_wakeup
	;;#ASMEND
.LBB6_1217:                             ;   in Loop: Header=BB6_1157 Depth=2
	s_or_b32 exec_lo, exec_lo, s27
.LBB6_1218:                             ;   in Loop: Header=BB6_1157 Depth=2
	s_and_not1_saveexec_b32 s18, s18
	s_cbranch_execz .LBB6_1220
; %bb.1219:                             ;   in Loop: Header=BB6_1157 Depth=2
	;;#ASMSTART
	s_waitcnt lgkmcnt(0) vmcnt(0)
	;;#ASMEND
	s_barrier_signal -1
	s_barrier_wait -1
.LBB6_1220:                             ;   in Loop: Header=BB6_1157 Depth=2
	s_or_b32 exec_lo, exec_lo, s18
.LBB6_1221:                             ;   in Loop: Header=BB6_1157 Depth=2
	s_delay_alu instid0(SALU_CYCLE_1) | instskip(SKIP_2) | instid1(VALU_DEP_1)
	s_or_b32 exec_lo, exec_lo, s13
	v_and_b32_e32 v2, 32, v30
	s_mov_b32 s13, exec_lo
	v_cmpx_ne_u32_e32 0, v2
	s_cbranch_execz .LBB6_1156
; %bb.1222:                             ;   in Loop: Header=BB6_1157 Depth=2
	v_add_nc_u64_e32 v[96:97], 2, v[96:97]
	global_wb scope:SCOPE_SYS
	s_wait_storecnt 0x0
	s_wait_loadcnt_dscnt 0x0
	flat_store_b64 v[20:21], v[96:97] scope:SCOPE_SYS
	s_branch .LBB6_1156
.LBB6_1223:
	s_or_b32 exec_lo, exec_lo, s59
	scratch_load_b64 v[16:17], off, s33 offset:192 ; 8-byte Folded Reload
.LBB6_1224:
	s_wait_xcnt 0x0
	s_or_b32 exec_lo, exec_lo, s43
	v_and_b32_e32 v0, 0x800, v30
	s_mov_b32 s1, exec_lo
	s_delay_alu instid0(VALU_DEP_1)
	v_cmpx_eq_u32_e32 0, v0
	s_cbranch_execz .LBB6_1257
; %bb.1225:
	v_and_b32_e32 v0, 48, v30
	s_mov_b32 s0, exec_lo
	s_delay_alu instid0(VALU_DEP_1)
	v_cmpx_ne_u32_e32 0, v0
	s_cbranch_execz .LBB6_1227
; %bb.1226:
	s_wait_loadcnt 0x0
	flat_store_b64 v[16:17], v[96:97] offset:104
.LBB6_1227:
	s_wait_xcnt 0x0
	s_or_b32 exec_lo, exec_lo, s0
	v_and_b32_e32 v0, 0x88, v30
	s_mov_b32 s2, exec_lo
	s_delay_alu instid0(VALU_DEP_1)
	v_cmpx_eq_u32_e32 0x88, v0
	s_cbranch_execz .LBB6_1237
; %bb.1228:
	v_add_nc_u32_e32 v0, 6, v96
	s_mov_b32 s3, 0
	s_delay_alu instid0(VALU_DEP_1) | instskip(NEXT) | instid1(VALU_DEP_1)
	v_and_b32_e32 v0, 7, v0
	v_mad_nc_u64_u32 v[2:3], v0, 24, v[6:7]
	v_and_b32_e32 v0, 64, v30
	s_delay_alu instid0(VALU_DEP_1)
	v_cmp_eq_u32_e64 s0, 0, v0
	flat_load_b64 v[4:5], v[2:3] offset:8 scope:SCOPE_SYS
	s_wait_loadcnt_dscnt 0x0
	v_cmp_ne_u64_e32 vcc_lo, -1, v[4:5]
	s_and_b32 s0, vcc_lo, s0
	s_wait_xcnt 0x0
	s_and_b32 exec_lo, exec_lo, s0
	s_cbranch_execz .LBB6_1237
; %bb.1229:
	s_mov_b32 s5, 0
                                        ; implicit-def: $sgpr0
                                        ; implicit-def: $sgpr4
	s_branch .LBB6_1232
.LBB6_1230:                             ;   in Loop: Header=BB6_1232 Depth=1
	flat_load_b64 v[4:5], v[2:3] offset:8 scope:SCOPE_SYS
	s_wait_loadcnt 0x0
	s_and_not1_b32 s4, s4, exec_lo
	s_wait_dscnt 0x0
	v_cmp_eq_u64_e32 vcc_lo, -1, v[4:5]
	s_or_not1_b32 s7, vcc_lo, exec_lo
.LBB6_1231:                             ;   in Loop: Header=BB6_1232 Depth=1
	s_wait_xcnt 0x0
	s_or_b32 exec_lo, exec_lo, s10
	s_delay_alu instid0(SALU_CYCLE_1) | instskip(NEXT) | instid1(SALU_CYCLE_1)
	s_and_b32 s6, exec_lo, s7
	s_or_b32 s3, s6, s3
	s_and_not1_b32 s0, s0, exec_lo
	s_and_b32 s6, s4, exec_lo
	s_delay_alu instid0(SALU_CYCLE_1)
	s_or_b32 s0, s0, s6
	s_and_not1_b32 exec_lo, exec_lo, s3
	s_cbranch_execz .LBB6_1235
.LBB6_1232:                             ; =>This Inner Loop Header: Depth=1
	s_cmp_lt_i32 s5, 0x270f
	s_cselect_b32 s6, -1, 0
	s_delay_alu instid0(SALU_CYCLE_1)
	s_and_b32 vcc_lo, exec_lo, s6
	s_cbranch_vccnz .LBB6_1234
; %bb.1233:                             ;   in Loop: Header=BB6_1232 Depth=1
	s_trap 2
	ds_load_b64 v[4:5], v0
	s_and_not1_b32 s6, s6, exec_lo
	s_mov_b32 s5, 0
	s_wait_storecnt_dscnt 0x0
	flat_load_b32 v0, v[4:5] scope:SCOPE_SYS
	s_wait_loadcnt_dscnt 0x0
	global_inv scope:SCOPE_SYS
	v_cmp_eq_u32_e32 vcc_lo, 0, v0
	s_and_b32 s7, vcc_lo, exec_lo
	s_delay_alu instid0(SALU_CYCLE_1)
	s_or_b32 s6, s6, s7
	s_mov_b32 s7, -1
	s_or_b32 s4, s4, exec_lo
	s_wait_xcnt 0x0
	s_and_saveexec_b32 s10, s6
	s_cbranch_execz .LBB6_1231
	s_branch .LBB6_1230
.LBB6_1234:                             ;   in Loop: Header=BB6_1232 Depth=1
	s_add_co_i32 s5, s5, 1
                                        ; implicit-def: $vgpr0
	s_mov_b32 s7, -1
	s_or_b32 s4, s4, exec_lo
	s_and_saveexec_b32 s10, s6
	s_cbranch_execz .LBB6_1231
	s_branch .LBB6_1230
.LBB6_1235:
	s_or_b32 exec_lo, exec_lo, s3
	s_and_saveexec_b32 s3, s0
	s_delay_alu instid0(SALU_CYCLE_1)
	s_xor_b32 s3, exec_lo, s3
	s_cbranch_execz .LBB6_1237
; %bb.1236:
	s_wait_loadcnt 0x0
	s_wait_storecnt 0x0
	ds_store_b32 v0, v0
	s_trap 2
.LBB6_1237:
	s_or_b32 exec_lo, exec_lo, s2
	v_and_b32_e32 v0, 0x2000, v30
	s_mov_b32 s0, exec_lo
	s_delay_alu instid0(VALU_DEP_1)
	v_cmpx_ne_u32_e32 0, v0
	s_cbranch_execz .LBB6_1239
; %bb.1238:
	s_trap 2
	scratch_load_b64 v[4:5], off, s33 offset:200 th:TH_LOAD_LU ; 8-byte Folded Reload
	ds_load_b64 v[2:3], v0
	s_wait_loadcnt_dscnt 0x0
	flat_store_b64 v[4:5], v[2:3] offset:16
.LBB6_1239:
	s_wait_xcnt 0x0
	s_or_b32 exec_lo, exec_lo, s0
	v_cmp_ne_u32_e32 vcc_lo, 32, v1
	s_and_b32 exec_lo, exec_lo, vcc_lo
	s_cbranch_execz .LBB6_1257
; %bb.1240:
	s_mov_b32 s0, exec_lo
	v_cmpx_ne_u32_e64 v1, v58
	s_xor_b32 s0, exec_lo, s0
	s_cbranch_execz .LBB6_1255
; %bb.1241:
	v_and_b32_e32 v0, 31, v31
	s_mov_b32 s2, exec_lo
	s_delay_alu instid0(VALU_DEP_1)
	v_cmpx_eq_u32_e32 0, v0
	s_cbranch_execz .LBB6_1254
; %bb.1242:
	s_mov_b32 s4, exec_lo
	s_mov_b32 s3, exec_lo
	v_mbcnt_lo_u32_b32 v0, s4, 0
	global_wb scope:SCOPE_DEV
	s_wait_storecnt 0x0
	s_wait_loadcnt_dscnt 0x0
	global_inv scope:SCOPE_DEV
	v_cmpx_eq_u32_e32 0, v0
	s_cbranch_execz .LBB6_1244
; %bb.1243:
	s_bcnt1_i32_b32 s4, s4
	s_delay_alu instid0(SALU_CYCLE_1)
	v_dual_mov_b32 v3, 0 :: v_dual_mov_b32 v2, s4
	s_wait_loadcnt 0x0
	ds_add_u64 v0, v[2:3]
	s_trap 2
.LBB6_1244:
	s_or_b32 exec_lo, exec_lo, s3
	s_trap 2
	ds_load_b64 v[2:3], v0
	s_wait_dscnt 0x0
	v_dual_mov_b32 v1, 0 :: v_dual_lshrrev_b32 v0, 5, v1
	s_mov_b32 s3, exec_lo
	s_delay_alu instid0(VALU_DEP_1) | instskip(NEXT) | instid1(VALU_DEP_1)
	v_add_nc_u64_e32 v[0:1], v[12:13], v[0:1]
	v_cmpx_lt_u64_e64 v[2:3], v[0:1]
	s_cbranch_execz .LBB6_1253
; %bb.1245:
	s_mov_b32 s4, 0
	s_mov_b32 s7, 0
                                        ; implicit-def: $sgpr5
                                        ; implicit-def: $sgpr6
	s_branch .LBB6_1247
.LBB6_1246:                             ;   in Loop: Header=BB6_1247 Depth=1
	s_or_b32 exec_lo, exec_lo, s11
	s_delay_alu instid0(SALU_CYCLE_1) | instskip(NEXT) | instid1(SALU_CYCLE_1)
	s_and_b32 s10, exec_lo, s12
	s_or_b32 s4, s10, s4
	s_and_not1_b32 s5, s5, exec_lo
	s_and_b32 s10, s6, exec_lo
	s_delay_alu instid0(SALU_CYCLE_1)
	s_or_b32 s5, s5, s10
	s_and_not1_b32 exec_lo, exec_lo, s4
	s_cbranch_execz .LBB6_1251
.LBB6_1247:                             ; =>This Inner Loop Header: Depth=1
	s_add_co_i32 s7, s7, 1
	s_delay_alu instid0(SALU_CYCLE_1) | instskip(SKIP_1) | instid1(SALU_CYCLE_1)
	s_cmp_lg_u32 s7, 0x2710
	s_cselect_b32 s10, -1, 0
	s_and_b32 vcc_lo, exec_lo, s10
	s_cbranch_vccz .LBB6_1249
; %bb.1248:                             ;   in Loop: Header=BB6_1247 Depth=1
	s_mov_b32 s12, -1
	s_or_b32 s6, s6, exec_lo
	s_and_saveexec_b32 s11, s10
	s_cbranch_execz .LBB6_1246
	s_branch .LBB6_1250
.LBB6_1249:                             ;   in Loop: Header=BB6_1247 Depth=1
	s_trap 2
	ds_load_b64 v[2:3], v0
	s_and_not1_b32 s10, s10, exec_lo
	s_mov_b32 s7, 0
	s_wait_loadcnt_dscnt 0x0
	flat_load_b32 v2, v[2:3] scope:SCOPE_SYS
	s_wait_loadcnt_dscnt 0x0
	global_inv scope:SCOPE_SYS
	v_cmp_eq_u32_e32 vcc_lo, 0, v2
	s_and_b32 s11, vcc_lo, exec_lo
	s_delay_alu instid0(SALU_CYCLE_1)
	s_or_b32 s10, s10, s11
	s_mov_b32 s12, -1
	s_or_b32 s6, s6, exec_lo
	s_and_saveexec_b32 s11, s10
	s_cbranch_execz .LBB6_1246
.LBB6_1250:                             ;   in Loop: Header=BB6_1247 Depth=1
	s_sleep 1
	s_trap 2
	ds_load_b64 v[2:3], v0
	s_wait_dscnt 0x0
	s_and_not1_b32 s6, s6, exec_lo
	v_cmp_ge_u64_e32 vcc_lo, v[2:3], v[0:1]
	s_or_not1_b32 s12, vcc_lo, exec_lo
	s_branch .LBB6_1246
.LBB6_1251:
	s_or_b32 exec_lo, exec_lo, s4
	s_and_saveexec_b32 s4, s5
	s_delay_alu instid0(SALU_CYCLE_1)
	s_xor_b32 s4, exec_lo, s4
	s_cbranch_execz .LBB6_1253
; %bb.1252:
	v_mov_b32_e32 v0, 1
	ds_store_b32 v0, v0
	s_trap 2
.LBB6_1253:
	s_or_b32 exec_lo, exec_lo, s3
	;;#ASMSTART
	s_wakeup
	;;#ASMEND
.LBB6_1254:
	s_or_b32 exec_lo, exec_lo, s2
.LBB6_1255:
	s_and_not1_saveexec_b32 s0, s0
	s_cbranch_execz .LBB6_1257
; %bb.1256:
	global_wb scope:SCOPE_DEV
	s_wait_storecnt 0x0
	s_wait_loadcnt_dscnt 0x0
	global_inv scope:SCOPE_DEV
	s_barrier_signal -1
	s_barrier_wait -1
.LBB6_1257:
	s_or_b32 exec_lo, exec_lo, s1
.LBB6_1258:
	s_and_not1_saveexec_b32 s21, s42
	s_cbranch_execz .LBB6_1260
; %bb.1259:
	s_get_pc_i64 s[0:1]
	s_add_nc_u64 s[0:1], s[0:1], __PRETTY_FUNCTION__._ZN10PrimitivesIf8FuncProdIfE12FanSymmetricILi1EELi0E11ProtoSimpleILi2ELi2ELi0ELi4ELi0ELi0EELi0ELb0ELi0ELi0ELi0EEC2EiiPKiS8_PKvPvmhhhP15ncclDevWorkCollP14ncclDevWorkP2pii@rel64+4
	s_get_pc_i64 s[2:3]
	s_add_nc_u64 s[2:3], s[2:3], __assert_fail@rel64+4
	v_dual_mov_b32 v0, s0 :: v_dual_mov_b32 v1, s1
	s_swap_pc_i64 s[30:31], s[2:3]
	; divergent unreachable
.LBB6_1260:
	s_or_b32 exec_lo, exec_lo, s21
	s_clause 0x2d
	scratch_load_b32 v125, off, s33
	scratch_load_b32 v124, off, s33 offset:4
	scratch_load_b32 v123, off, s33 offset:8
	;; [unrolled: 1-line block ×45, first 2 shown]
	v_readlane_b32 s30, v126, 0
	v_readlane_b32 s31, v126, 1
	s_mov_b32 s32, s33
	s_wait_xcnt 0x0
	s_or_saveexec_b32 s0, -1
	scratch_load_b32 v126, off, s33 offset:208 ; 4-byte Folded Reload
	s_wait_xcnt 0x0
	s_mov_b32 exec_lo, s0
	s_mov_b32 s33, s79
	s_wait_loadcnt_dscnt 0x0
	s_set_pc_i64 s[30:31]
.Lfunc_end6:
	.size	_ZN12_GLOBAL__N_17runRingIf8FuncProdIfE11ProtoSimpleILi2ELi2ELi0ELi4ELi0ELi0EELi0ELi0ELi4ELi0EEEviiP15ncclDevWorkColl, .Lfunc_end6-_ZN12_GLOBAL__N_17runRingIf8FuncProdIfE11ProtoSimpleILi2ELi2ELi0ELi4ELi0ELi0EELi0ELi0ELi4ELi0EEEviiP15ncclDevWorkColl
                                        ; -- End function
	.set .L_ZN12_GLOBAL__N_17runRingIf8FuncProdIfE11ProtoSimpleILi2ELi2ELi0ELi4ELi0ELi0EELi0ELi0ELi4ELi0EEEviiP15ncclDevWorkColl.num_vgpr, max(127, .L__assert_fail.num_vgpr)
	.set .L_ZN12_GLOBAL__N_17runRingIf8FuncProdIfE11ProtoSimpleILi2ELi2ELi0ELi4ELi0ELi0EELi0ELi0ELi4ELi0EEEviiP15ncclDevWorkColl.num_agpr, max(0, .L__assert_fail.num_agpr)
	.set .L_ZN12_GLOBAL__N_17runRingIf8FuncProdIfE11ProtoSimpleILi2ELi2ELi0ELi4ELi0ELi0EELi0ELi0ELi4ELi0EEEviiP15ncclDevWorkColl.numbered_sgpr, max(80, .L__assert_fail.numbered_sgpr)
	.set .L_ZN12_GLOBAL__N_17runRingIf8FuncProdIfE11ProtoSimpleILi2ELi2ELi0ELi4ELi0ELi0EELi0ELi0ELi4ELi0EEEviiP15ncclDevWorkColl.num_named_barrier, max(0, .L__assert_fail.num_named_barrier)
	.set .L_ZN12_GLOBAL__N_17runRingIf8FuncProdIfE11ProtoSimpleILi2ELi2ELi0ELi4ELi0ELi0EELi0ELi0ELi4ELi0EEEviiP15ncclDevWorkColl.private_seg_size, 224+max(.L__assert_fail.private_seg_size)
	.set .L_ZN12_GLOBAL__N_17runRingIf8FuncProdIfE11ProtoSimpleILi2ELi2ELi0ELi4ELi0ELi0EELi0ELi0ELi4ELi0EEEviiP15ncclDevWorkColl.uses_vcc, or(1, .L__assert_fail.uses_vcc)
	.set .L_ZN12_GLOBAL__N_17runRingIf8FuncProdIfE11ProtoSimpleILi2ELi2ELi0ELi4ELi0ELi0EELi0ELi0ELi4ELi0EEEviiP15ncclDevWorkColl.uses_flat_scratch, or(1, .L__assert_fail.uses_flat_scratch)
	.set .L_ZN12_GLOBAL__N_17runRingIf8FuncProdIfE11ProtoSimpleILi2ELi2ELi0ELi4ELi0ELi0EELi0ELi0ELi4ELi0EEEviiP15ncclDevWorkColl.has_dyn_sized_stack, or(0, .L__assert_fail.has_dyn_sized_stack)
	.set .L_ZN12_GLOBAL__N_17runRingIf8FuncProdIfE11ProtoSimpleILi2ELi2ELi0ELi4ELi0ELi0EELi0ELi0ELi4ELi0EEEviiP15ncclDevWorkColl.has_recursion, or(1, .L__assert_fail.has_recursion)
	.set .L_ZN12_GLOBAL__N_17runRingIf8FuncProdIfE11ProtoSimpleILi2ELi2ELi0ELi4ELi0ELi0EELi0ELi0ELi4ELi0EEEviiP15ncclDevWorkColl.has_indirect_call, or(0, .L__assert_fail.has_indirect_call)
	.section	.AMDGPU.csdata,"",@progbits
; Function info:
; codeLenInByte = 45092
; TotalNumSgprs: 82
; NumVgprs: 127
; ScratchSize: 288
; MemoryBound: 1
	.text
	.p2align	2                               ; -- Begin function _Z48ncclDevFunc_AllReduce_RING_SIMPLE_Prod_f32_0_0_4v
	.type	_Z48ncclDevFunc_AllReduce_RING_SIMPLE_Prod_f32_0_0_4v,@function
_Z48ncclDevFunc_AllReduce_RING_SIMPLE_Prod_f32_0_0_4v: ; @_Z48ncclDevFunc_AllReduce_RING_SIMPLE_Prod_f32_0_0_4v
; %bb.0:
	s_wait_loadcnt_dscnt 0x0
	s_wait_kmcnt 0x0
	s_mov_b32 s95, s33
	s_mov_b32 s33, s32
	s_or_saveexec_b32 s0, -1
	scratch_store_b32 off, v42, s33 offset:12 ; 4-byte Folded Spill
	s_wait_xcnt 0x0
	s_mov_b32 exec_lo, s0
	s_add_co_i32 s32, s32, 32
	s_clause 0x2
	scratch_store_b32 off, v40, s33 offset:8
	; meta instruction
	scratch_store_b32 off, v41, s33 offset:4
	; meta instruction
	scratch_store_b32 off, v126, s33
	v_writelane_b32 v42, s30, 0
	v_writelane_b32 v42, s31, 1
	s_trap 2
	ds_load_b32 v0, v0
	s_wait_xcnt 0x2
	v_mov_b32_e32 v40, v31
	s_wait_dscnt 0x0
	v_cmp_gt_i32_e32 vcc_lo, 1, v0
	s_cbranch_vccnz .LBB7_8
; %bb.1:
	s_wait_xcnt 0x1
	v_and_b32_e32 v41, 0x3ff, v40
	s_mov_b32 s90, s12
	s_mov_b64 s[88:89], s[8:9]
	s_mov_b32 s91, 0
	s_get_pc_i64 s[92:93]
	s_add_nc_u64 s[92:93], s[92:93], _ZN12_GLOBAL__N_17runRingIf8FuncProdIfE11ProtoSimpleILi2ELi2ELi0ELi4ELi0ELi0EELi0ELi0ELi4ELi0EEEviiP15ncclDevWorkColl@rel64+4
	s_branch .LBB7_3
.LBB7_2:                                ;   in Loop: Header=BB7_3 Depth=1
	s_or_b32 exec_lo, exec_lo, s94
	s_trap 2
	ds_load_b32 v0, v0
	s_add_co_i32 s91, s91, 1
	s_wait_dscnt 0x0
	v_cmp_lt_i32_e32 vcc_lo, s91, v0
	s_cbranch_vccz .LBB7_8
.LBB7_3:                                ; =>This Inner Loop Header: Depth=1
	s_trap 2
	ds_load_b32 v0, v0
	s_cmp_eq_u32 s91, 0
	s_cbranch_scc1 .LBB7_6
; %bb.4:                                ;   in Loop: Header=BB7_3 Depth=1
	s_trap 2
	s_wait_dscnt 0x0
	ds_load_b32 v1, v0
	s_wait_dscnt 0x0
	v_xor_b32_e32 v1, v1, v0
	s_delay_alu instid0(VALU_DEP_1) | instskip(NEXT) | instid1(VALU_DEP_1)
	v_and_b32_e32 v1, 0xff0000, v1
	v_cmp_eq_u32_e32 vcc_lo, 0, v1
	s_cbranch_vccnz .LBB7_6
; %bb.5:                                ;   in Loop: Header=BB7_3 Depth=1
	s_wait_storecnt 0x0
	s_barrier_signal -1
	s_barrier_wait -1
	ds_load_b32 v0, v0
.LBB7_6:                                ;   in Loop: Header=BB7_3 Depth=1
	s_wait_dscnt 0x0
	v_lshrrev_b32_e32 v0, 11, v0
	s_mov_b32 s94, exec_lo
	s_delay_alu instid0(VALU_DEP_1) | instskip(SKIP_1) | instid1(VALU_DEP_1)
	v_and_b32_e32 v1, 0x1fe0, v0
	s_wait_xcnt 0x0
	v_cmpx_lt_u32_e64 v41, v1
	s_cbranch_execz .LBB7_2
; %bb.7:                                ;   in Loop: Header=BB7_3 Depth=1
	s_mov_b64 s[0:1], src_shared_base
	v_dual_mov_b32 v31, v40 :: v_dual_mov_b32 v0, v41
	v_mov_b32_e32 v3, s1
	s_mov_b64 s[8:9], s[88:89]
	s_mov_b32 s12, s90
	s_swap_pc_i64 s[30:31], s[92:93]
	s_branch .LBB7_2
.LBB7_8:
	s_clause 0x2
	scratch_load_b32 v126, off, s33
	scratch_load_b32 v41, off, s33 offset:4
	scratch_load_b32 v40, off, s33 offset:8
	v_readlane_b32 s30, v42, 0
	v_readlane_b32 s31, v42, 1
	s_mov_b32 s32, s33
	s_wait_xcnt 0x0
	s_or_saveexec_b32 s0, -1
	scratch_load_b32 v42, off, s33 offset:12 ; 4-byte Folded Reload
	s_wait_xcnt 0x0
	s_mov_b32 exec_lo, s0
	s_mov_b32 s33, s95
	s_wait_loadcnt 0x0
	s_set_pc_i64 s[30:31]
.Lfunc_end7:
	.size	_Z48ncclDevFunc_AllReduce_RING_SIMPLE_Prod_f32_0_0_4v, .Lfunc_end7-_Z48ncclDevFunc_AllReduce_RING_SIMPLE_Prod_f32_0_0_4v
                                        ; -- End function
	.set .L_Z48ncclDevFunc_AllReduce_RING_SIMPLE_Prod_f32_0_0_4v.num_vgpr, max(127, .L_ZN12_GLOBAL__N_17runRingIf8FuncProdIfE11ProtoSimpleILi2ELi2ELi0ELi4ELi0ELi0EELi0ELi0ELi4ELi0EEEviiP15ncclDevWorkColl.num_vgpr)
	.set .L_Z48ncclDevFunc_AllReduce_RING_SIMPLE_Prod_f32_0_0_4v.num_agpr, max(0, .L_ZN12_GLOBAL__N_17runRingIf8FuncProdIfE11ProtoSimpleILi2ELi2ELi0ELi4ELi0ELi0EELi0ELi0ELi4ELi0EEEviiP15ncclDevWorkColl.num_agpr)
	.set .L_Z48ncclDevFunc_AllReduce_RING_SIMPLE_Prod_f32_0_0_4v.numbered_sgpr, max(96, .L_ZN12_GLOBAL__N_17runRingIf8FuncProdIfE11ProtoSimpleILi2ELi2ELi0ELi4ELi0ELi0EELi0ELi0ELi4ELi0EEEviiP15ncclDevWorkColl.numbered_sgpr)
	.set .L_Z48ncclDevFunc_AllReduce_RING_SIMPLE_Prod_f32_0_0_4v.num_named_barrier, max(0, .L_ZN12_GLOBAL__N_17runRingIf8FuncProdIfE11ProtoSimpleILi2ELi2ELi0ELi4ELi0ELi0EELi0ELi0ELi4ELi0EEEviiP15ncclDevWorkColl.num_named_barrier)
	.set .L_Z48ncclDevFunc_AllReduce_RING_SIMPLE_Prod_f32_0_0_4v.private_seg_size, 32+max(.L_ZN12_GLOBAL__N_17runRingIf8FuncProdIfE11ProtoSimpleILi2ELi2ELi0ELi4ELi0ELi0EELi0ELi0ELi4ELi0EEEviiP15ncclDevWorkColl.private_seg_size)
	.set .L_Z48ncclDevFunc_AllReduce_RING_SIMPLE_Prod_f32_0_0_4v.uses_vcc, or(1, .L_ZN12_GLOBAL__N_17runRingIf8FuncProdIfE11ProtoSimpleILi2ELi2ELi0ELi4ELi0ELi0EELi0ELi0ELi4ELi0EEEviiP15ncclDevWorkColl.uses_vcc)
	.set .L_Z48ncclDevFunc_AllReduce_RING_SIMPLE_Prod_f32_0_0_4v.uses_flat_scratch, or(1, .L_ZN12_GLOBAL__N_17runRingIf8FuncProdIfE11ProtoSimpleILi2ELi2ELi0ELi4ELi0ELi0EELi0ELi0ELi4ELi0EEEviiP15ncclDevWorkColl.uses_flat_scratch)
	.set .L_Z48ncclDevFunc_AllReduce_RING_SIMPLE_Prod_f32_0_0_4v.has_dyn_sized_stack, or(0, .L_ZN12_GLOBAL__N_17runRingIf8FuncProdIfE11ProtoSimpleILi2ELi2ELi0ELi4ELi0ELi0EELi0ELi0ELi4ELi0EEEviiP15ncclDevWorkColl.has_dyn_sized_stack)
	.set .L_Z48ncclDevFunc_AllReduce_RING_SIMPLE_Prod_f32_0_0_4v.has_recursion, or(1, .L_ZN12_GLOBAL__N_17runRingIf8FuncProdIfE11ProtoSimpleILi2ELi2ELi0ELi4ELi0ELi0EELi0ELi0ELi4ELi0EEEviiP15ncclDevWorkColl.has_recursion)
	.set .L_Z48ncclDevFunc_AllReduce_RING_SIMPLE_Prod_f32_0_0_4v.has_indirect_call, or(0, .L_ZN12_GLOBAL__N_17runRingIf8FuncProdIfE11ProtoSimpleILi2ELi2ELi0ELi4ELi0ELi0EELi0ELi0ELi4ELi0EEEviiP15ncclDevWorkColl.has_indirect_call)
	.section	.AMDGPU.csdata,"",@progbits
; Function info:
; codeLenInByte = 464
; TotalNumSgprs: 98
; NumVgprs: 127
; ScratchSize: 320
; MemoryBound: 0
	.text
	.p2alignl 7, 3214868480
	.fill 96, 4, 3214868480
	.section	.AMDGPU.gpr_maximums,"",@progbits
	.set amdgpu.max_num_vgpr, 127
	.set amdgpu.max_num_agpr, 0
	.set amdgpu.max_num_sgpr, 96
	.text
	.type	__const.__assert_fail.fmt,@object ; @__const.__assert_fail.fmt
	.section	.rodata.str1.16,"aMS",@progbits,1
	.p2align	4, 0x0
__const.__assert_fail.fmt:
	.asciz	"%s:%u: %s: Device-side assertion `%s' failed.\n"
	.size	__const.__assert_fail.fmt, 47

	.type	.str.3,@object                  ; @.str.3
	.section	.rodata.str1.1,"aMS",@progbits,1
.str.3:
	.asciz	"2*(nrecv+nsend) <= nthreads"
	.size	.str.3, 28

	.type	.str.4,@object                  ; @.str.4
.str.4:
	.asciz	"/root/src/amdgpu-assembly/repos/ROCm__rccl/hipify/src/device/prims_simple.h"
	.size	.str.4, 76

	.type	__PRETTY_FUNCTION__._ZN10PrimitivesIf8FuncProdIfE12FanSymmetricILi1EELi0E11ProtoSimpleILi2ELi2ELi0ELi1ELi0ELi0EELi0ELb0ELi0ELi0ELi0EEC2EiiPKiS8_PKvPvmhhhP15ncclDevWorkCollP14ncclDevWorkP2pii,@object ; @__PRETTY_FUNCTION__._ZN10PrimitivesIf8FuncProdIfE12FanSymmetricILi1EELi0E11ProtoSimpleILi2ELi2ELi0ELi1ELi0ELi0EELi0ELb0ELi0ELi0ELi0EEC2EiiPKiS8_PKvPvmhhhP15ncclDevWorkCollP14ncclDevWorkP2pii
__PRETTY_FUNCTION__._ZN10PrimitivesIf8FuncProdIfE12FanSymmetricILi1EELi0E11ProtoSimpleILi2ELi2ELi0ELi1ELi0ELi0EELi0ELb0ELi0ELi0ELi0EEC2EiiPKiS8_PKvPvmhhhP15ncclDevWorkCollP14ncclDevWorkP2pii:
	.asciz	"Primitives<float, FuncProd<float>, FanSymmetric<1>, 0, ProtoSimple<2, 2, 0, 1>, 0>::Primitives(int, int, const int *, const int *, const void *, void *, uint64_t, uint8_t, uint8_t, uint8_t, struct ncclDevWorkColl *, struct ncclDevWorkP2p *, int, int) [T = float, RedOp = FuncProd<float>, Fan = FanSymmetric<1>, Direct = 0, Proto = ProtoSimple<2, 2, 0, 1>, P2p = 0, isNetOffload = false, Metadata = 0, Pipeline = 0, useAcc = 0]"
	.size	__PRETTY_FUNCTION__._ZN10PrimitivesIf8FuncProdIfE12FanSymmetricILi1EELi0E11ProtoSimpleILi2ELi2ELi0ELi1ELi0ELi0EELi0ELb0ELi0ELi0ELi0EEC2EiiPKiS8_PKvPvmhhhP15ncclDevWorkCollP14ncclDevWorkP2pii, 427

	.type	__PRETTY_FUNCTION__._ZN10PrimitivesIf8FuncProdIfE12FanSymmetricILi1EELi0E11ProtoSimpleILi2ELi2ELi0ELi2ELi0ELi0EELi0ELb0ELi0ELi0ELi0EEC2EiiPKiS8_PKvPvmhhhP15ncclDevWorkCollP14ncclDevWorkP2pii,@object ; @__PRETTY_FUNCTION__._ZN10PrimitivesIf8FuncProdIfE12FanSymmetricILi1EELi0E11ProtoSimpleILi2ELi2ELi0ELi2ELi0ELi0EELi0ELb0ELi0ELi0ELi0EEC2EiiPKiS8_PKvPvmhhhP15ncclDevWorkCollP14ncclDevWorkP2pii
__PRETTY_FUNCTION__._ZN10PrimitivesIf8FuncProdIfE12FanSymmetricILi1EELi0E11ProtoSimpleILi2ELi2ELi0ELi2ELi0ELi0EELi0ELb0ELi0ELi0ELi0EEC2EiiPKiS8_PKvPvmhhhP15ncclDevWorkCollP14ncclDevWorkP2pii:
	.asciz	"Primitives<float, FuncProd<float>, FanSymmetric<1>, 0, ProtoSimple<2, 2, 0, 2>, 0>::Primitives(int, int, const int *, const int *, const void *, void *, uint64_t, uint8_t, uint8_t, uint8_t, struct ncclDevWorkColl *, struct ncclDevWorkP2p *, int, int) [T = float, RedOp = FuncProd<float>, Fan = FanSymmetric<1>, Direct = 0, Proto = ProtoSimple<2, 2, 0, 2>, P2p = 0, isNetOffload = false, Metadata = 0, Pipeline = 0, useAcc = 0]"
	.size	__PRETTY_FUNCTION__._ZN10PrimitivesIf8FuncProdIfE12FanSymmetricILi1EELi0E11ProtoSimpleILi2ELi2ELi0ELi2ELi0ELi0EELi0ELb0ELi0ELi0ELi0EEC2EiiPKiS8_PKvPvmhhhP15ncclDevWorkCollP14ncclDevWorkP2pii, 427

	.type	__PRETTY_FUNCTION__._ZN10PrimitivesIf8FuncProdIfE12FanSymmetricILi1EELi0E11ProtoSimpleILi2ELi2ELi0ELi4ELi0ELi0EELi0ELb0ELi0ELi0ELi0EEC2EiiPKiS8_PKvPvmhhhP15ncclDevWorkCollP14ncclDevWorkP2pii,@object ; @__PRETTY_FUNCTION__._ZN10PrimitivesIf8FuncProdIfE12FanSymmetricILi1EELi0E11ProtoSimpleILi2ELi2ELi0ELi4ELi0ELi0EELi0ELb0ELi0ELi0ELi0EEC2EiiPKiS8_PKvPvmhhhP15ncclDevWorkCollP14ncclDevWorkP2pii
__PRETTY_FUNCTION__._ZN10PrimitivesIf8FuncProdIfE12FanSymmetricILi1EELi0E11ProtoSimpleILi2ELi2ELi0ELi4ELi0ELi0EELi0ELb0ELi0ELi0ELi0EEC2EiiPKiS8_PKvPvmhhhP15ncclDevWorkCollP14ncclDevWorkP2pii:
	.asciz	"Primitives<float, FuncProd<float>, FanSymmetric<1>, 0, ProtoSimple<2, 2, 0, 4>, 0>::Primitives(int, int, const int *, const int *, const void *, void *, uint64_t, uint8_t, uint8_t, uint8_t, struct ncclDevWorkColl *, struct ncclDevWorkP2p *, int, int) [T = float, RedOp = FuncProd<float>, Fan = FanSymmetric<1>, Direct = 0, Proto = ProtoSimple<2, 2, 0, 4>, P2p = 0, isNetOffload = false, Metadata = 0, Pipeline = 0, useAcc = 0]"
	.size	__PRETTY_FUNCTION__._ZN10PrimitivesIf8FuncProdIfE12FanSymmetricILi1EELi0E11ProtoSimpleILi2ELi2ELi0ELi4ELi0ELi0EELi0ELb0ELi0ELi0ELi0EEC2EiiPKiS8_PKvPvmhhhP15ncclDevWorkCollP14ncclDevWorkP2pii, 427

	.type	__hip_cuid_29654f1805d463f4,@object ; @__hip_cuid_29654f1805d463f4
	.section	.bss,"aw",@nobits
	.globl	__hip_cuid_29654f1805d463f4
__hip_cuid_29654f1805d463f4:
	.byte	0                               ; 0x0
	.size	__hip_cuid_29654f1805d463f4, 1

	.ident	"AMD clang version 22.0.0git (https://github.com/RadeonOpenCompute/llvm-project roc-7.2.4 26084 f58b06dce1f9c15707c5f808fd002e18c2accf7e)"
	.section	".note.GNU-stack","",@progbits
	.addrsig
	.addrsig_sym _Z48ncclDevFunc_AllReduce_RING_SIMPLE_Prod_f32_0_0_1v
	.addrsig_sym _Z48ncclDevFunc_AllReduce_RING_SIMPLE_Prod_f32_0_0_2v
	.addrsig_sym _Z48ncclDevFunc_AllReduce_RING_SIMPLE_Prod_f32_0_0_4v
	.addrsig_sym ncclShmem
	.addrsig_sym __hip_cuid_29654f1805d463f4
	.amdgpu_metadata
---
amdhsa.kernels:  []
amdhsa.target:   amdgcn-amd-amdhsa--gfx1250
amdhsa.version:
  - 1
  - 2
...

	.end_amdgpu_metadata
